;; amdgpu-corpus repo=ROCm/rocFFT kind=compiled arch=gfx1030 opt=O3
	.text
	.amdgcn_target "amdgcn-amd-amdhsa--gfx1030"
	.amdhsa_code_object_version 6
	.protected	bluestein_single_fwd_len408_dim1_half_op_CI_CI ; -- Begin function bluestein_single_fwd_len408_dim1_half_op_CI_CI
	.globl	bluestein_single_fwd_len408_dim1_half_op_CI_CI
	.p2align	8
	.type	bluestein_single_fwd_len408_dim1_half_op_CI_CI,@function
bluestein_single_fwd_len408_dim1_half_op_CI_CI: ; @bluestein_single_fwd_len408_dim1_half_op_CI_CI
; %bb.0:
	s_load_dwordx4 s[12:15], s[4:5], 0x28
	v_mul_u32_u24_e32 v1, 0xf10, v0
	s_mov_b64 s[22:23], s[2:3]
	s_mov_b64 s[20:21], s[0:1]
	s_add_u32 s20, s20, s7
	v_lshrrev_b32_e32 v1, 16, v1
	s_addc_u32 s21, s21, 0
	v_mad_u64_u32 v[23:24], null, s6, 3, v[1:2]
	v_mov_b32_e32 v24, 0
                                        ; kill: def $vgpr2 killed $sgpr0 killed $exec
	s_mov_b32 s0, exec_lo
	s_waitcnt lgkmcnt(0)
	v_cmpx_gt_u64_e64 s[12:13], v[23:24]
	s_cbranch_execz .LBB0_15
; %bb.1:
	s_clause 0x1
	s_load_dwordx4 s[8:11], s[4:5], 0x18
	s_load_dwordx2 s[12:13], s[4:5], 0x0
	v_mul_lo_u16 v1, v1, 17
	v_sub_nc_u16 v19, v0, v1
	v_and_b32_e32 v87, 0xffff, v19
	v_or_b32_e32 v18, 0x60, v87
	v_or_b32_e32 v15, 0xc0, v87
	;; [unrolled: 1-line block ×3, first 2 shown]
	s_waitcnt lgkmcnt(0)
	s_load_dwordx4 s[0:3], s[8:9], 0x0
	v_or_b32_e32 v17, 0x180, v87
	v_lshlrev_b32_e32 v44, 2, v87
	s_clause 0x2
	global_load_dword v92, v44, s[12:13]
	global_load_dword v82, v44, s[12:13] offset:768
	global_load_dword v77, v44, s[12:13] offset:1152
	buffer_store_dword v15, off, s[20:23], 0 offset:8 ; 4-byte Folded Spill
	buffer_store_dword v16, off, s[20:23], 0 offset:4 ; 4-byte Folded Spill
	buffer_store_dword v17, off, s[20:23], 0 ; 4-byte Folded Spill
	buffer_store_dword v18, off, s[20:23], 0 offset:12 ; 4-byte Folded Spill
	global_load_dword v72, v44, s[12:13] offset:1536
	s_waitcnt lgkmcnt(0)
	v_mad_u64_u32 v[0:1], null, s2, v23, 0
	v_mad_u64_u32 v[2:3], null, s0, v87, 0
	;; [unrolled: 1-line block ×10, first 2 shown]
	v_mov_b32_e32 v1, v12
	v_mad_u64_u32 v[16:17], null, s1, v17, v[11:12]
	v_mov_b32_e32 v3, v13
	v_mov_b32_e32 v7, v14
	v_lshlrev_b64 v[0:1], 2, v[0:1]
	v_mov_b32_e32 v9, v15
	v_mad_u64_u32 v[17:18], null, s1, v18, v[5:6]
	v_lshlrev_b64 v[2:3], 2, v[2:3]
	v_lshlrev_b64 v[5:6], 2, v[6:7]
	v_lshlrev_b64 v[7:8], 2, v[8:9]
	v_add_co_u32 v9, vcc_lo, s14, v0
	v_add_co_ci_u32_e32 v12, vcc_lo, s15, v1, vcc_lo
	v_mov_b32_e32 v11, v16
	v_add_co_u32 v2, vcc_lo, v9, v2
	v_add_co_ci_u32_e32 v3, vcc_lo, v12, v3, vcc_lo
	v_lshlrev_b64 v[0:1], 2, v[10:11]
	v_add_co_u32 v5, vcc_lo, v9, v5
	v_add_co_ci_u32_e32 v6, vcc_lo, v12, v6, vcc_lo
	s_mul_i32 s2, s1, 24
	s_mul_hi_u32 s7, s0, 24
	v_add_co_u32 v7, vcc_lo, v9, v7
	s_mul_i32 s6, s0, 24
	s_add_i32 s7, s7, s2
	v_add_co_ci_u32_e32 v8, vcc_lo, v12, v8, vcc_lo
	v_add_co_u32 v0, vcc_lo, v9, v0
	s_lshl_b64 s[16:17], s[6:7], 2
	v_add_co_ci_u32_e32 v1, vcc_lo, v12, v1, vcc_lo
	s_clause 0x1
	global_load_dword v6, v[5:6], off
	global_load_dword v10, v[2:3], off
	v_add_co_u32 v2, vcc_lo, v2, s16
	v_add_co_ci_u32_e32 v3, vcc_lo, s17, v3, vcc_lo
	v_mov_b32_e32 v5, v17
	s_clause 0x1
	global_load_dword v7, v[7:8], off
	global_load_dword v8, v[0:1], off
	s_clause 0x3
	global_load_dword v91, v44, s[12:13] offset:96
	global_load_dword v90, v44, s[12:13] offset:192
	global_load_dword v89, v44, s[12:13] offset:288
	global_load_dword v88, v44, s[12:13] offset:384
	global_load_dword v11, v[2:3], off
	v_add_co_u32 v0, vcc_lo, v2, s16
	v_add_co_ci_u32_e32 v1, vcc_lo, s17, v3, vcc_lo
	v_lshlrev_b64 v[2:3], 2, v[4:5]
	v_add_co_u32 v4, vcc_lo, v0, s16
	v_add_co_ci_u32_e32 v5, vcc_lo, s17, v1, vcc_lo
	global_load_dword v13, v[0:1], off
	v_add_co_u32 v0, vcc_lo, v9, v2
	v_add_co_ci_u32_e32 v1, vcc_lo, v12, v3, vcc_lo
	s_mul_i32 s2, s1, 0xc0
	s_mul_hi_u32 s3, s0, 0xc0
	s_mul_i32 s6, s0, 0xc0
	s_add_i32 s3, s3, s2
	s_clause 0x1
	global_load_dword v9, v[4:5], off
	global_load_dword v12, v[0:1], off
	v_add_co_u32 v0, vcc_lo, v4, s6
	v_add_co_ci_u32_e32 v1, vcc_lo, s3, v5, vcc_lo
	s_clause 0x2
	global_load_dword v86, v44, s[12:13] offset:480
	global_load_dword v85, v44, s[12:13] offset:576
	;; [unrolled: 1-line block ×3, first 2 shown]
	global_load_dword v14, v[0:1], off
	v_add_co_u32 v0, vcc_lo, v0, s16
	v_add_co_ci_u32_e32 v1, vcc_lo, s17, v1, vcc_lo
	s_clause 0x1
	global_load_dword v81, v44, s[12:13] offset:864
	global_load_dword v80, v44, s[12:13] offset:960
	v_add_co_u32 v2, vcc_lo, v0, s16
	v_add_co_ci_u32_e32 v3, vcc_lo, s17, v1, vcc_lo
	global_load_dword v15, v[0:1], off
	s_clause 0x2
	global_load_dword v76, v44, s[12:13] offset:1248
	global_load_dword v75, v44, s[12:13] offset:1344
	;; [unrolled: 1-line block ×3, first 2 shown]
	global_load_dword v16, v[2:3], off
	v_add_co_u32 v0, vcc_lo, v2, s6
	v_add_co_ci_u32_e32 v1, vcc_lo, s3, v3, vcc_lo
	global_load_dword v79, v44, s[12:13] offset:1056
	v_add_co_u32 v2, vcc_lo, v0, s16
	v_add_co_ci_u32_e32 v3, vcc_lo, s17, v1, vcc_lo
	global_load_dword v17, v[0:1], off
	v_add_co_u32 v0, vcc_lo, v2, s16
	v_add_co_ci_u32_e32 v1, vcc_lo, s17, v3, vcc_lo
	global_load_dword v18, v[2:3], off
	;; [unrolled: 3-line block ×5, first 2 shown]
	global_load_dword v5, v[0:1], off
	v_mul_hi_u32 v2, 0xaaaaaaab, v23
	v_cmp_gt_u16_e32 vcc_lo, 7, v19
	s_load_dwordx2 s[6:7], s[4:5], 0x38
	s_load_dwordx4 s[8:11], s[10:11], 0x0
	v_add_co_u32 v21, s2, s12, v44
	v_add_co_ci_u32_e64 v22, null, s13, 0, s2
	v_lshrrev_b32_e32 v2, 1, v2
	v_lshl_add_u32 v2, v2, 1, v2
	v_sub_nc_u32_e32 v2, v23, v2
	v_mul_u32_u24_e32 v3, 0x198, v2
	v_lshlrev_b32_e32 v93, 2, v3
	buffer_store_dword v3, off, s[20:23], 0 offset:16 ; 4-byte Folded Spill
	v_add_nc_u32_e32 v70, v44, v93
	v_add_nc_u32_e32 v3, 0x200, v70
	;; [unrolled: 1-line block ×3, first 2 shown]
	s_waitcnt vmcnt(29)
	v_lshrrev_b32_e32 v26, 16, v6
	s_waitcnt vmcnt(28)
	v_lshrrev_b32_e32 v19, 16, v10
	v_mul_f16_sdwa v25, v92, v10 dst_sel:DWORD dst_unused:UNUSED_PAD src0_sel:WORD_1 src1_sel:DWORD
	v_mul_f16_sdwa v27, v82, v6 dst_sel:DWORD dst_unused:UNUSED_PAD src0_sel:WORD_1 src1_sel:DWORD
	s_waitcnt vmcnt(27)
	v_lshrrev_b32_e32 v28, 16, v7
	v_mul_f16_sdwa v29, v77, v7 dst_sel:DWORD dst_unused:UNUSED_PAD src0_sel:WORD_1 src1_sel:DWORD
	s_waitcnt vmcnt(26)
	v_lshrrev_b32_e32 v30, 16, v8
	v_mul_f16_sdwa v31, v72, v8 dst_sel:DWORD dst_unused:UNUSED_PAD src0_sel:WORD_1 src1_sel:DWORD
	v_mul_f16_sdwa v32, v92, v19 dst_sel:DWORD dst_unused:UNUSED_PAD src0_sel:WORD_1 src1_sel:DWORD
	v_fma_f16 v19, v92, v19, -v25
	s_waitcnt vmcnt(21)
	v_lshrrev_b32_e32 v25, 16, v11
	v_mul_f16_sdwa v33, v91, v11 dst_sel:DWORD dst_unused:UNUSED_PAD src0_sel:WORD_1 src1_sel:DWORD
	v_fma_f16 v27, v82, v26, -v27
	v_mul_f16_sdwa v26, v82, v26 dst_sel:DWORD dst_unused:UNUSED_PAD src0_sel:WORD_1 src1_sel:DWORD
	v_fma_f16 v29, v77, v28, -v29
	;; [unrolled: 2-line block ×3, first 2 shown]
	v_mul_f16_sdwa v30, v72, v30 dst_sel:DWORD dst_unused:UNUSED_PAD src0_sel:WORD_1 src1_sel:DWORD
	v_fmac_f16_e32 v32, v92, v10
	v_fma_f16 v10, v91, v25, -v33
	v_mul_f16_sdwa v25, v91, v25 dst_sel:DWORD dst_unused:UNUSED_PAD src0_sel:WORD_1 src1_sel:DWORD
	v_fmac_f16_e32 v26, v82, v6
	s_waitcnt vmcnt(20)
	v_lshrrev_b32_e32 v6, 16, v13
	v_fmac_f16_e32 v28, v77, v7
	v_mul_f16_sdwa v7, v90, v13 dst_sel:DWORD dst_unused:UNUSED_PAD src0_sel:WORD_1 src1_sel:DWORD
	v_fmac_f16_e32 v30, v72, v8
	v_pack_b32_f16 v8, v32, v19
	v_fmac_f16_e32 v25, v91, v11
	v_mul_f16_sdwa v11, v90, v6 dst_sel:DWORD dst_unused:UNUSED_PAD src0_sel:WORD_1 src1_sel:DWORD
	v_fma_f16 v6, v90, v6, -v7
	s_waitcnt vmcnt(19)
	v_lshrrev_b32_e32 v7, 16, v9
	s_waitcnt vmcnt(18)
	v_lshrrev_b32_e32 v32, 16, v12
	v_pack_b32_f16 v26, v26, v27
	v_mul_f16_sdwa v27, v88, v12 dst_sel:DWORD dst_unused:UNUSED_PAD src0_sel:WORD_1 src1_sel:DWORD
	v_mul_f16_sdwa v19, v89, v9 dst_sel:DWORD dst_unused:UNUSED_PAD src0_sel:WORD_1 src1_sel:DWORD
	v_pack_b32_f16 v10, v25, v10
	v_fmac_f16_e32 v11, v90, v13
	v_mul_f16_sdwa v13, v89, v7 dst_sel:DWORD dst_unused:UNUSED_PAD src0_sel:WORD_1 src1_sel:DWORD
	v_fma_f16 v25, v88, v32, -v27
	s_waitcnt vmcnt(14)
	v_lshrrev_b32_e32 v27, 16, v14
	v_pack_b32_f16 v28, v28, v29
	v_pack_b32_f16 v29, v30, v31
	v_fma_f16 v7, v89, v7, -v19
	v_mul_f16_sdwa v19, v88, v32 dst_sel:DWORD dst_unused:UNUSED_PAD src0_sel:WORD_1 src1_sel:DWORD
	v_mul_f16_sdwa v30, v86, v14 dst_sel:DWORD dst_unused:UNUSED_PAD src0_sel:WORD_1 src1_sel:DWORD
	ds_write2_b32 v70, v8, v10 offset1:24
	v_pack_b32_f16 v6, v11, v6
	v_fmac_f16_e32 v13, v89, v9
	v_mul_f16_sdwa v8, v86, v27 dst_sel:DWORD dst_unused:UNUSED_PAD src0_sel:WORD_1 src1_sel:DWORD
	s_waitcnt vmcnt(11)
	v_lshrrev_b32_e32 v10, 16, v15
	v_mul_f16_sdwa v11, v85, v15 dst_sel:DWORD dst_unused:UNUSED_PAD src0_sel:WORD_1 src1_sel:DWORD
	v_fmac_f16_e32 v19, v88, v12
	v_fma_f16 v9, v86, v27, -v30
	v_pack_b32_f16 v7, v13, v7
	v_fmac_f16_e32 v8, v86, v14
	v_mul_f16_sdwa v13, v85, v10 dst_sel:DWORD dst_unused:UNUSED_PAD src0_sel:WORD_1 src1_sel:DWORD
	v_fma_f16 v10, v85, v10, -v11
	s_waitcnt vmcnt(7)
	v_lshrrev_b32_e32 v11, 16, v16
	v_mul_f16_sdwa v14, v84, v16 dst_sel:DWORD dst_unused:UNUSED_PAD src0_sel:WORD_1 src1_sel:DWORD
	v_pack_b32_f16 v12, v19, v25
	ds_write2_b32 v70, v6, v7 offset0:48 offset1:72
	v_pack_b32_f16 v6, v8, v9
	v_fmac_f16_e32 v13, v85, v15
	v_mul_f16_sdwa v7, v84, v11 dst_sel:DWORD dst_unused:UNUSED_PAD src0_sel:WORD_1 src1_sel:DWORD
	v_fma_f16 v8, v84, v11, -v14
	s_waitcnt vmcnt(5)
	v_lshrrev_b32_e32 v9, 16, v17
	v_mul_f16_sdwa v11, v81, v17 dst_sel:DWORD dst_unused:UNUSED_PAD src0_sel:WORD_1 src1_sel:DWORD
	ds_write2_b32 v70, v12, v6 offset0:96 offset1:120
	v_pack_b32_f16 v6, v13, v10
	v_fmac_f16_e32 v7, v84, v16
	v_mul_f16_sdwa v10, v81, v9 dst_sel:DWORD dst_unused:UNUSED_PAD src0_sel:WORD_1 src1_sel:DWORD
	v_fma_f16 v9, v81, v9, -v11
	s_waitcnt vmcnt(4)
	v_lshrrev_b32_e32 v11, 16, v18
	v_mul_f16_sdwa v12, v80, v18 dst_sel:DWORD dst_unused:UNUSED_PAD src0_sel:WORD_1 src1_sel:DWORD
	v_pack_b32_f16 v7, v7, v8
	v_fmac_f16_e32 v10, v81, v17
	s_waitcnt vmcnt(3)
	v_lshrrev_b32_e32 v8, 16, v20
	v_mul_f16_sdwa v13, v80, v11 dst_sel:DWORD dst_unused:UNUSED_PAD src0_sel:WORD_1 src1_sel:DWORD
	v_fma_f16 v11, v80, v11, -v12
	v_mul_f16_sdwa v12, v79, v20 dst_sel:DWORD dst_unused:UNUSED_PAD src0_sel:WORD_1 src1_sel:DWORD
	s_waitcnt vmcnt(2)
	v_lshrrev_b32_e32 v14, 16, v24
	v_pack_b32_f16 v9, v10, v9
	v_mul_f16_sdwa v10, v79, v8 dst_sel:DWORD dst_unused:UNUSED_PAD src0_sel:WORD_1 src1_sel:DWORD
	s_waitcnt vmcnt(1)
	v_lshrrev_b32_e32 v15, 16, v4
	v_fma_f16 v8, v79, v8, -v12
	v_mul_f16_sdwa v12, v76, v24 dst_sel:DWORD dst_unused:UNUSED_PAD src0_sel:WORD_1 src1_sel:DWORD
	s_waitcnt vmcnt(0)
	v_lshrrev_b32_e32 v17, 16, v5
	v_mul_f16_sdwa v16, v76, v14 dst_sel:DWORD dst_unused:UNUSED_PAD src0_sel:WORD_1 src1_sel:DWORD
	v_fmac_f16_e32 v13, v80, v18
	v_fmac_f16_e32 v10, v79, v20
	v_fma_f16 v12, v76, v14, -v12
	v_mul_f16_sdwa v14, v75, v4 dst_sel:DWORD dst_unused:UNUSED_PAD src0_sel:WORD_1 src1_sel:DWORD
	v_mul_f16_sdwa v18, v75, v15 dst_sel:DWORD dst_unused:UNUSED_PAD src0_sel:WORD_1 src1_sel:DWORD
	;; [unrolled: 1-line block ×4, first 2 shown]
	v_fmac_f16_e32 v16, v76, v24
	v_fma_f16 v14, v75, v15, -v14
	v_fmac_f16_e32 v18, v75, v4
	v_fma_f16 v4, v74, v17, -v19
	v_fmac_f16_e32 v20, v74, v5
	v_pack_b32_f16 v5, v13, v11
	v_pack_b32_f16 v8, v10, v8
	;; [unrolled: 1-line block ×5, first 2 shown]
	ds_write2_b32 v70, v6, v7 offset0:144 offset1:168
	ds_write2_b32 v70, v26, v9 offset0:192 offset1:216
	ds_write2_b32 v3, v5, v8 offset0:112 offset1:136
	ds_write2_b32 v2, v28, v10 offset0:32 offset1:56
	ds_write2_b32 v2, v11, v4 offset0:80 offset1:104
	ds_write_b32 v70, v29 offset:1536
	s_and_saveexec_b32 s2, vcc_lo
	s_cbranch_execz .LBB0_3
; %bb.2:
	v_mad_u64_u32 v[0:1], null, 0xfffffaa4, s0, v[0:1]
	s_mulk_i32 s1, 0xfaa4
	s_clause 0x1
	global_load_dword v8, v[21:22], off offset:68
	global_load_dword v9, v[21:22], off offset:164
	s_sub_i32 s0, s1, s0
	v_add_nc_u32_e32 v1, s0, v1
	v_add_co_u32 v4, s0, v0, s16
	v_add_co_ci_u32_e64 v5, s0, s17, v1, s0
	global_load_dword v10, v[0:1], off
	v_add_co_u32 v0, s0, v4, s16
	v_add_co_ci_u32_e64 v1, s0, s17, v5, s0
	global_load_dword v11, v[4:5], off
	;; [unrolled: 3-line block ×3, first 2 shown]
	v_add_co_u32 v0, s0, v4, s16
	v_add_co_ci_u32_e64 v1, s0, s17, v5, s0
	s_clause 0x1
	global_load_dword v13, v[21:22], off offset:260
	global_load_dword v14, v[21:22], off offset:356
	global_load_dword v15, v[4:5], off
	global_load_dword v16, v[0:1], off
	v_add_co_u32 v0, s0, v0, s16
	v_add_co_ci_u32_e64 v1, s0, s17, v1, s0
	s_clause 0x3
	global_load_dword v17, v[21:22], off offset:452
	global_load_dword v18, v[21:22], off offset:548
	;; [unrolled: 1-line block ×4, first 2 shown]
	v_add_co_u32 v4, s0, v0, s16
	v_add_co_ci_u32_e64 v5, s0, s17, v1, s0
	global_load_dword v24, v[0:1], off
	v_add_co_u32 v0, s0, v4, s16
	v_add_co_ci_u32_e64 v1, s0, s17, v5, s0
	global_load_dword v25, v[4:5], off
	;; [unrolled: 3-line block ×3, first 2 shown]
	v_add_co_u32 v0, s0, v4, s16
	v_add_co_ci_u32_e64 v1, s0, s17, v5, s0
	global_load_dword v27, v[21:22], off offset:836
	global_load_dword v28, v[4:5], off
	global_load_dword v29, v[0:1], off
	v_add_co_u32 v0, s0, v0, s16
	v_add_co_ci_u32_e64 v1, s0, s17, v1, s0
	s_clause 0x4
	global_load_dword v30, v[21:22], off offset:932
	global_load_dword v31, v[21:22], off offset:1028
	;; [unrolled: 1-line block ×5, first 2 shown]
	v_add_co_u32 v4, s0, v0, s16
	v_add_co_ci_u32_e64 v5, s0, s17, v1, s0
	global_load_dword v35, v[0:1], off
	v_add_co_u32 v0, s0, v4, s16
	v_add_co_ci_u32_e64 v1, s0, s17, v5, s0
	global_load_dword v36, v[4:5], off
	;; [unrolled: 3-line block ×4, first 2 shown]
	v_add_co_u32 v4, s0, v0, s16
	v_add_co_ci_u32_e64 v5, s0, s17, v1, s0
	v_add_co_u32 v6, s0, v4, s16
	v_add_co_ci_u32_e64 v7, s0, s17, v5, s0
	global_load_dword v0, v[0:1], off
	global_load_dword v1, v[21:22], off offset:1412
	global_load_dword v4, v[4:5], off
	global_load_dword v5, v[6:7], off
	s_clause 0x1
	global_load_dword v6, v[21:22], off offset:1508
	global_load_dword v7, v[21:22], off offset:1604
	s_waitcnt vmcnt(31)
	v_lshrrev_b32_e32 v39, 16, v10
	v_mul_f16_sdwa v40, v8, v10 dst_sel:DWORD dst_unused:UNUSED_PAD src0_sel:WORD_1 src1_sel:DWORD
	v_mul_f16_sdwa v41, v8, v39 dst_sel:DWORD dst_unused:UNUSED_PAD src0_sel:WORD_1 src1_sel:DWORD
	s_waitcnt vmcnt(30)
	v_lshrrev_b32_e32 v42, 16, v11
	v_mul_f16_sdwa v43, v9, v11 dst_sel:DWORD dst_unused:UNUSED_PAD src0_sel:WORD_1 src1_sel:DWORD
	v_fma_f16 v39, v8, v39, -v40
	v_fmac_f16_e32 v41, v8, v10
	v_mul_f16_sdwa v8, v9, v42 dst_sel:DWORD dst_unused:UNUSED_PAD src0_sel:WORD_1 src1_sel:DWORD
	s_waitcnt vmcnt(29)
	v_lshrrev_b32_e32 v10, 16, v12
	v_fma_f16 v40, v9, v42, -v43
	s_waitcnt vmcnt(28)
	v_mul_f16_sdwa v42, v13, v12 dst_sel:DWORD dst_unused:UNUSED_PAD src0_sel:WORD_1 src1_sel:DWORD
	v_pack_b32_f16 v39, v41, v39
	v_fmac_f16_e32 v8, v9, v11
	v_mul_f16_sdwa v9, v13, v10 dst_sel:DWORD dst_unused:UNUSED_PAD src0_sel:WORD_1 src1_sel:DWORD
	s_waitcnt vmcnt(26)
	v_lshrrev_b32_e32 v11, 16, v15
	v_mul_f16_sdwa v41, v14, v15 dst_sel:DWORD dst_unused:UNUSED_PAD src0_sel:WORD_1 src1_sel:DWORD
	v_fma_f16 v10, v13, v10, -v42
	v_pack_b32_f16 v8, v8, v40
	v_fmac_f16_e32 v9, v13, v12
	v_mul_f16_sdwa v12, v14, v11 dst_sel:DWORD dst_unused:UNUSED_PAD src0_sel:WORD_1 src1_sel:DWORD
	s_waitcnt vmcnt(25)
	v_lshrrev_b32_e32 v13, 16, v16
	v_fma_f16 v11, v14, v11, -v41
	s_waitcnt vmcnt(24)
	v_mul_f16_sdwa v40, v17, v16 dst_sel:DWORD dst_unused:UNUSED_PAD src0_sel:WORD_1 src1_sel:DWORD
	ds_write2_b32 v70, v39, v8 offset0:17 offset1:41
	v_pack_b32_f16 v8, v9, v10
	v_fmac_f16_e32 v12, v14, v15
	v_mul_f16_sdwa v9, v17, v13 dst_sel:DWORD dst_unused:UNUSED_PAD src0_sel:WORD_1 src1_sel:DWORD
	s_waitcnt vmcnt(20)
	v_lshrrev_b32_e32 v10, 16, v24
	v_mul_f16_sdwa v14, v18, v24 dst_sel:DWORD dst_unused:UNUSED_PAD src0_sel:WORD_1 src1_sel:DWORD
	v_fma_f16 v13, v17, v13, -v40
	v_pack_b32_f16 v11, v12, v11
	v_fmac_f16_e32 v9, v17, v16
	v_mul_f16_sdwa v12, v18, v10 dst_sel:DWORD dst_unused:UNUSED_PAD src0_sel:WORD_1 src1_sel:DWORD
	v_fma_f16 v10, v18, v10, -v14
	s_waitcnt vmcnt(19)
	v_lshrrev_b32_e32 v14, 16, v25
	v_mul_f16_sdwa v15, v19, v25 dst_sel:DWORD dst_unused:UNUSED_PAD src0_sel:WORD_1 src1_sel:DWORD
	ds_write2_b32 v70, v8, v11 offset0:65 offset1:89
	v_pack_b32_f16 v8, v9, v13
	v_fmac_f16_e32 v12, v18, v24
	v_mul_f16_sdwa v9, v19, v14 dst_sel:DWORD dst_unused:UNUSED_PAD src0_sel:WORD_1 src1_sel:DWORD
	s_waitcnt vmcnt(18)
	v_lshrrev_b32_e32 v11, 16, v26
	v_mul_f16_sdwa v13, v20, v26 dst_sel:DWORD dst_unused:UNUSED_PAD src0_sel:WORD_1 src1_sel:DWORD
	v_fma_f16 v14, v19, v14, -v15
	v_pack_b32_f16 v10, v12, v10
	v_fmac_f16_e32 v9, v19, v25
	v_mul_f16_sdwa v12, v20, v11 dst_sel:DWORD dst_unused:UNUSED_PAD src0_sel:WORD_1 src1_sel:DWORD
	v_fma_f16 v11, v20, v11, -v13
	s_waitcnt vmcnt(16)
	v_lshrrev_b32_e32 v13, 16, v28
	v_mul_f16_sdwa v15, v27, v28 dst_sel:DWORD dst_unused:UNUSED_PAD src0_sel:WORD_1 src1_sel:DWORD
	ds_write2_b32 v70, v8, v10 offset0:113 offset1:137
	v_pack_b32_f16 v8, v9, v14
	v_fmac_f16_e32 v12, v20, v26
	v_mul_f16_sdwa v9, v27, v13 dst_sel:DWORD dst_unused:UNUSED_PAD src0_sel:WORD_1 src1_sel:DWORD
	s_waitcnt vmcnt(15)
	v_lshrrev_b32_e32 v10, 16, v29
	s_waitcnt vmcnt(14)
	v_mul_f16_sdwa v14, v30, v29 dst_sel:DWORD dst_unused:UNUSED_PAD src0_sel:WORD_1 src1_sel:DWORD
	v_fma_f16 v13, v27, v13, -v15
	v_pack_b32_f16 v11, v12, v11
	v_fmac_f16_e32 v9, v27, v28
	v_mul_f16_sdwa v12, v30, v10 dst_sel:DWORD dst_unused:UNUSED_PAD src0_sel:WORD_1 src1_sel:DWORD
	v_fma_f16 v10, v30, v10, -v14
	s_waitcnt vmcnt(9)
	v_lshrrev_b32_e32 v14, 16, v35
	v_mul_f16_sdwa v15, v31, v35 dst_sel:DWORD dst_unused:UNUSED_PAD src0_sel:WORD_1 src1_sel:DWORD
	ds_write2_b32 v70, v8, v11 offset0:161 offset1:185
	v_pack_b32_f16 v8, v9, v13
	v_fmac_f16_e32 v12, v30, v29
	v_mul_f16_sdwa v9, v31, v14 dst_sel:DWORD dst_unused:UNUSED_PAD src0_sel:WORD_1 src1_sel:DWORD
	s_waitcnt vmcnt(8)
	v_lshrrev_b32_e32 v11, 16, v36
	v_mul_f16_sdwa v13, v32, v36 dst_sel:DWORD dst_unused:UNUSED_PAD src0_sel:WORD_1 src1_sel:DWORD
	v_fma_f16 v14, v31, v14, -v15
	v_pack_b32_f16 v10, v12, v10
	v_fmac_f16_e32 v9, v31, v35
	v_mul_f16_sdwa v12, v32, v11 dst_sel:DWORD dst_unused:UNUSED_PAD src0_sel:WORD_1 src1_sel:DWORD
	v_fma_f16 v11, v32, v11, -v13
	s_waitcnt vmcnt(7)
	v_lshrrev_b32_e32 v13, 16, v37
	v_mul_f16_sdwa v15, v33, v37 dst_sel:DWORD dst_unused:UNUSED_PAD src0_sel:WORD_1 src1_sel:DWORD
	v_pack_b32_f16 v9, v9, v14
	v_fmac_f16_e32 v12, v32, v36
	s_waitcnt vmcnt(6)
	v_lshrrev_b32_e32 v14, 16, v38
	v_mul_f16_sdwa v17, v34, v38 dst_sel:DWORD dst_unused:UNUSED_PAD src0_sel:WORD_1 src1_sel:DWORD
	v_mul_f16_sdwa v16, v33, v13 dst_sel:DWORD dst_unused:UNUSED_PAD src0_sel:WORD_1 src1_sel:DWORD
	v_fma_f16 v13, v33, v13, -v15
	v_pack_b32_f16 v11, v12, v11
	v_mul_f16_sdwa v12, v34, v14 dst_sel:DWORD dst_unused:UNUSED_PAD src0_sel:WORD_1 src1_sel:DWORD
	v_fma_f16 v14, v34, v14, -v17
	s_waitcnt vmcnt(5)
	v_lshrrev_b32_e32 v15, 16, v0
	s_waitcnt vmcnt(4)
	v_mul_f16_sdwa v17, v1, v0 dst_sel:DWORD dst_unused:UNUSED_PAD src0_sel:WORD_1 src1_sel:DWORD
	s_waitcnt vmcnt(3)
	v_lshrrev_b32_e32 v18, 16, v4
	s_waitcnt vmcnt(2)
	v_lshrrev_b32_e32 v19, 16, v5
	s_waitcnt vmcnt(0)
	v_mul_f16_sdwa v26, v7, v5 dst_sel:DWORD dst_unused:UNUSED_PAD src0_sel:WORD_1 src1_sel:DWORD
	v_mul_f16_sdwa v20, v1, v15 dst_sel:DWORD dst_unused:UNUSED_PAD src0_sel:WORD_1 src1_sel:DWORD
	v_fma_f16 v15, v1, v15, -v17
	v_mul_f16_sdwa v17, v6, v4 dst_sel:DWORD dst_unused:UNUSED_PAD src0_sel:WORD_1 src1_sel:DWORD
	v_mul_f16_sdwa v24, v6, v18 dst_sel:DWORD dst_unused:UNUSED_PAD src0_sel:WORD_1 src1_sel:DWORD
	;; [unrolled: 1-line block ×3, first 2 shown]
	v_fmac_f16_e32 v16, v33, v37
	v_fmac_f16_e32 v12, v34, v38
	;; [unrolled: 1-line block ×3, first 2 shown]
	v_fma_f16 v0, v6, v18, -v17
	v_fmac_f16_e32 v24, v6, v4
	v_fmac_f16_e32 v25, v7, v5
	v_fma_f16 v1, v7, v19, -v26
	v_pack_b32_f16 v4, v16, v13
	v_pack_b32_f16 v5, v12, v14
	;; [unrolled: 1-line block ×5, first 2 shown]
	ds_write2_b32 v70, v8, v10 offset0:209 offset1:233
	ds_write2_b32 v2, v9, v11 offset0:1 offset1:25
	;; [unrolled: 1-line block ×4, first 2 shown]
	ds_write_b32 v70, v1 offset:1604
.LBB0_3:
	s_or_b32 exec_lo, exec_lo, s2
	s_waitcnt lgkmcnt(0)
	s_waitcnt_vscnt null, 0x0
	s_barrier
	buffer_gl0_inv
	ds_read2_b32 v[16:17], v70 offset1:24
	ds_read2_b32 v[30:31], v70 offset0:48 offset1:72
	ds_read2_b32 v[34:35], v70 offset0:96 offset1:120
	;; [unrolled: 1-line block ×7, first 2 shown]
	ds_read_b32 v95, v70 offset:1536
	s_load_dwordx2 s[0:1], s[4:5], 0x8
	v_mov_b32_e32 v0, 0
                                        ; kill: def $vgpr1 killed $sgpr0 killed $exec
                                        ; implicit-def: $vgpr9
                                        ; implicit-def: $vgpr6
                                        ; implicit-def: $vgpr11
                                        ; implicit-def: $vgpr4
                                        ; implicit-def: $vgpr13
                                        ; implicit-def: $vgpr2
                                        ; implicit-def: $vgpr15
                                        ; implicit-def: $vgpr20
	s_and_saveexec_b32 s2, vcc_lo
	s_cbranch_execz .LBB0_5
; %bb.4:
	v_add_nc_u32_e32 v2, 0x400, v70
	ds_read2_b32 v[0:1], v70 offset0:17 offset1:41
	ds_read2_b32 v[14:15], v70 offset0:65 offset1:89
	;; [unrolled: 1-line block ×8, first 2 shown]
	ds_read_b32 v20, v70 offset:1604
.LBB0_5:
	s_or_b32 exec_lo, exec_lo, s2
	s_waitcnt lgkmcnt(0)
	v_pk_add_f16 v46, v1, v20 neg_lo:[0,1] neg_hi:[0,1]
	v_mov_b32_e32 v45, 0xb5c8
	v_mov_b32_e32 v138, 0xb964
	v_pk_add_f16 v42, v20, v1
	v_pk_add_f16 v94, v14, v3 neg_lo:[0,1] neg_hi:[0,1]
	v_mov_b32_e32 v47, 0xbbf7
	v_mul_f16_sdwa v24, v46, v45 dst_sel:DWORD dst_unused:UNUSED_PAD src0_sel:WORD_1 src1_sel:DWORD
	v_pk_add_f16 v43, v3, v14
	v_mul_f16_sdwa v25, v46, v138 dst_sel:DWORD dst_unused:UNUSED_PAD src0_sel:WORD_1 src1_sel:DWORD
	v_mul_f16_sdwa v26, v94, v138 dst_sel:DWORD dst_unused:UNUSED_PAD src0_sel:WORD_1 src1_sel:DWORD
	v_mov_b32_e32 v140, 0xbb29
	buffer_store_dword v24, off, s[20:23], 0 offset:24 ; 4-byte Folded Spill
	v_fmamk_f16 v24, v42, 0x3b76, v24
	v_pk_add_f16 v96, v15, v2 neg_lo:[0,1] neg_hi:[0,1]
	v_mul_f16_sdwa v27, v94, v47 dst_sel:DWORD dst_unused:UNUSED_PAD src0_sel:WORD_1 src1_sel:DWORD
	buffer_store_dword v25, off, s[20:23], 0 offset:32 ; 4-byte Folded Spill
	v_fmamk_f16 v25, v42, 0x39e9, v25
	buffer_store_dword v26, off, s[20:23], 0 offset:20 ; 4-byte Folded Spill
	v_fmamk_f16 v26, v43, 0x39e9, v26
	v_add_f16_e32 v24, v24, v0
	v_pk_add_f16 v53, v2, v15
	v_mul_f16_sdwa v28, v96, v140 dst_sel:DWORD dst_unused:UNUSED_PAD src0_sel:WORD_1 src1_sel:DWORD
	v_mov_b32_e32 v144, 0xba62
	buffer_store_dword v27, off, s[20:23], 0 offset:28 ; 4-byte Folded Spill
	v_fmamk_f16 v27, v43, 0x2de8, v27
	v_add_f16_e32 v25, v25, v0
	v_add_f16_e32 v24, v26, v24
	v_fmamk_f16 v26, v53, 0x3722, v28
	v_mul_f16_sdwa v59, v96, v144 dst_sel:DWORD dst_unused:UNUSED_PAD src0_sel:WORD_1 src1_sel:DWORD
	v_pk_add_f16 v98, v12, v5 neg_lo:[0,1] neg_hi:[0,1]
	v_add_f16_e32 v25, v27, v25
	v_pk_add_f16 v56, v5, v12
	v_add_f16_e32 v24, v26, v24
	v_fmamk_f16 v26, v53, 0xb8d2, v59
	v_mul_f16_sdwa v27, v98, v47 dst_sel:DWORD dst_unused:UNUSED_PAD src0_sel:WORD_1 src1_sel:DWORD
	v_mov_b32_e32 v97, 0xb1e1
	v_mov_b32_e32 v102, 0xbbb2
	v_pk_add_f16 v99, v13, v4 neg_lo:[0,1] neg_hi:[0,1]
	v_add_f16_e32 v25, v26, v25
	v_fmamk_f16 v26, v56, 0x2de8, v27
	v_mul_f16_sdwa v63, v98, v97 dst_sel:DWORD dst_unused:UNUSED_PAD src0_sel:WORD_1 src1_sel:DWORD
	v_mov_b32_e32 v146, 0x3836
	v_pk_add_f16 v58, v4, v13
	v_mul_f16_sdwa v57, v99, v102 dst_sel:DWORD dst_unused:UNUSED_PAD src0_sel:WORD_1 src1_sel:DWORD
	v_add_f16_e32 v24, v26, v24
	v_pk_add_f16 v100, v10, v7 neg_lo:[0,1] neg_hi:[0,1]
	v_fmamk_f16 v26, v56, 0xbbdd, v63
	v_mul_f16_sdwa v67, v99, v146 dst_sel:DWORD dst_unused:UNUSED_PAD src0_sel:WORD_1 src1_sel:DWORD
	v_mov_b32_e32 v147, 0x3bb2
	buffer_store_dword v27, off, s[20:23], 0 offset:40 ; 4-byte Folded Spill
	v_fmamk_f16 v27, v58, 0xb461, v57
	v_pk_add_f16 v61, v7, v10
	v_mul_f16_sdwa v60, v100, v144 dst_sel:DWORD dst_unused:UNUSED_PAD src0_sel:WORD_1 src1_sel:DWORD
	v_add_f16_e32 v25, v26, v25
	v_fmamk_f16 v26, v58, 0xbacd, v67
	v_mul_f16_sdwa v69, v100, v147 dst_sel:DWORD dst_unused:UNUSED_PAD src0_sel:WORD_1 src1_sel:DWORD
	v_mov_b32_e32 v141, 0xb836
	v_pk_add_f16 v101, v11, v6 neg_lo:[0,1] neg_hi:[0,1]
	v_add_f16_e32 v24, v27, v24
	v_fmamk_f16 v27, v61, 0xb8d2, v60
	v_add_f16_e32 v25, v26, v25
	v_fmamk_f16 v26, v61, 0xb461, v69
	v_pk_add_f16 v66, v6, v11
	v_mul_f16_sdwa v62, v101, v141 dst_sel:DWORD dst_unused:UNUSED_PAD src0_sel:WORD_1 src1_sel:DWORD
	v_mov_b32_e32 v143, 0x3b29
	v_add_f16_e32 v24, v27, v24
	v_add_f16_e32 v25, v26, v25
	v_pk_add_f16 v103, v8, v9 neg_lo:[0,1] neg_hi:[0,1]
	v_fmamk_f16 v26, v66, 0xbacd, v62
	v_mul_f16_sdwa v64, v101, v143 dst_sel:DWORD dst_unused:UNUSED_PAD src0_sel:WORD_1 src1_sel:DWORD
	v_pk_add_f16 v104, v9, v8
	v_mov_b32_e32 v153, 0x35c8
	v_mul_f16_sdwa v65, v103, v97 dst_sel:DWORD dst_unused:UNUSED_PAD src0_sel:WORD_1 src1_sel:DWORD
	v_add_f16_e32 v24, v26, v24
	v_fmamk_f16 v26, v66, 0x3722, v64
	v_mul_f16_sdwa v113, v46, v140 dst_sel:DWORD dst_unused:UNUSED_PAD src0_sel:WORD_1 src1_sel:DWORD
	v_mul_f16_sdwa v68, v103, v153 dst_sel:DWORD dst_unused:UNUSED_PAD src0_sel:WORD_1 src1_sel:DWORD
	;; [unrolled: 1-line block ×4, first 2 shown]
	v_add_f16_e32 v26, v26, v25
	v_fmamk_f16 v25, v104, 0xbbdd, v65
	v_mul_f16_sdwa v120, v94, v97 dst_sel:DWORD dst_unused:UNUSED_PAD src0_sel:WORD_1 src1_sel:DWORD
	v_fmamk_f16 v27, v43, 0xb8d2, v111
	v_mov_b32_e32 v156, 0x31e1
	buffer_store_dword v28, off, s[20:23], 0 offset:36 ; 4-byte Folded Spill
	v_add_f16_e32 v25, v25, v24
	v_fmamk_f16 v24, v104, 0x3b76, v68
	v_fmamk_f16 v28, v43, 0xbbdd, v120
	v_mul_f16_sdwa v112, v96, v156 dst_sel:DWORD dst_unused:UNUSED_PAD src0_sel:WORD_1 src1_sel:DWORD
	v_mul_f16_sdwa v119, v96, v147 dst_sel:DWORD dst_unused:UNUSED_PAD src0_sel:WORD_1 src1_sel:DWORD
	;; [unrolled: 1-line block ×3, first 2 shown]
	v_add_f16_e32 v24, v24, v26
	v_fmamk_f16 v26, v42, 0x3722, v113
	v_mul_f16_sdwa v118, v98, v153 dst_sel:DWORD dst_unused:UNUSED_PAD src0_sel:WORD_1 src1_sel:DWORD
	v_mov_b32_e32 v139, 0x3964
	v_mul_f16_sdwa v117, v99, v140 dst_sel:DWORD dst_unused:UNUSED_PAD src0_sel:WORD_1 src1_sel:DWORD
	v_mul_f16_sdwa v107, v100, v45 dst_sel:DWORD dst_unused:UNUSED_PAD src0_sel:WORD_1 src1_sel:DWORD
	v_add_f16_e32 v26, v26, v0
	v_mul_f16_sdwa v116, v100, v141 dst_sel:DWORD dst_unused:UNUSED_PAD src0_sel:WORD_1 src1_sel:DWORD
	v_mul_f16_sdwa v108, v99, v139 dst_sel:DWORD dst_unused:UNUSED_PAD src0_sel:WORD_1 src1_sel:DWORD
	;; [unrolled: 1-line block ×3, first 2 shown]
	v_mov_b32_e32 v142, 0x3a62
	v_add_f16_e32 v26, v27, v26
	v_fmamk_f16 v27, v42, 0x2de8, v121
	v_mul_f16_sdwa v105, v103, v141 dst_sel:DWORD dst_unused:UNUSED_PAD src0_sel:WORD_1 src1_sel:DWORD
	v_mul_f16_sdwa v114, v103, v139 dst_sel:DWORD dst_unused:UNUSED_PAD src0_sel:WORD_1 src1_sel:DWORD
	;; [unrolled: 1-line block ×4, first 2 shown]
	v_add_f16_e32 v27, v27, v0
	v_mul_f16_sdwa v128, v94, v146 dst_sel:DWORD dst_unused:UNUSED_PAD src0_sel:WORD_1 src1_sel:DWORD
	v_mul_f16_sdwa v137, v46, v144 dst_sel:DWORD dst_unused:UNUSED_PAD src0_sel:WORD_1 src1_sel:DWORD
	;; [unrolled: 1-line block ×4, first 2 shown]
	v_add_f16_e32 v27, v28, v27
	v_fmamk_f16 v28, v53, 0xbbdd, v112
	v_fmamk_f16 v29, v43, 0xbacd, v128
	v_fmamk_f16 v110, v43, 0xb461, v135
	v_mul_f16_sdwa v136, v96, v45 dst_sel:DWORD dst_unused:UNUSED_PAD src0_sel:WORD_1 src1_sel:DWORD
	v_mul_f16_sdwa v126, v98, v140 dst_sel:DWORD dst_unused:UNUSED_PAD src0_sel:WORD_1 src1_sel:DWORD
	v_add_f16_e32 v26, v28, v26
	v_fmamk_f16 v28, v53, 0xb461, v119
	v_mul_f16_sdwa v134, v98, v141 dst_sel:DWORD dst_unused:UNUSED_PAD src0_sel:WORD_1 src1_sel:DWORD
	v_mul_f16_sdwa v125, v99, v97 dst_sel:DWORD dst_unused:UNUSED_PAD src0_sel:WORD_1 src1_sel:DWORD
	v_mov_b32_e32 v152, 0x3bf7
	v_mul_f16_sdwa v132, v100, v138 dst_sel:DWORD dst_unused:UNUSED_PAD src0_sel:WORD_1 src1_sel:DWORD
	v_add_f16_e32 v27, v28, v27
	v_fmamk_f16 v28, v56, 0xb461, v109
	v_mul_f16_sdwa v123, v101, v45 dst_sel:DWORD dst_unused:UNUSED_PAD src0_sel:WORD_1 src1_sel:DWORD
	v_mul_f16_sdwa v133, v99, v152 dst_sel:DWORD dst_unused:UNUSED_PAD src0_sel:WORD_1 src1_sel:DWORD
	;; [unrolled: 1-line block ×4, first 2 shown]
	v_add_f16_e32 v26, v28, v26
	v_fmamk_f16 v28, v56, 0x3b76, v118
	v_mul_f16_sdwa v122, v103, v144 dst_sel:DWORD dst_unused:UNUSED_PAD src0_sel:WORD_1 src1_sel:DWORD
	v_mul_f16_sdwa v130, v103, v143 dst_sel:DWORD dst_unused:UNUSED_PAD src0_sel:WORD_1 src1_sel:DWORD
	v_pk_add_f16 v145, v39, v40
	v_pk_add_f16 v172, v40, v39 neg_lo:[0,1] neg_hi:[0,1]
	v_add_f16_e32 v27, v28, v27
	v_fmamk_f16 v28, v58, 0x39e9, v108
	v_pk_add_f16 v177, v41, v38 neg_lo:[0,1] neg_hi:[0,1]
	v_pk_add_f16 v181, v34, v37 neg_lo:[0,1] neg_hi:[0,1]
	;; [unrolled: 1-line block ×4, first 2 shown]
	v_add_f16_e32 v26, v28, v26
	v_fmamk_f16 v28, v58, 0x3722, v117
	v_pk_add_f16 v186, v95, v17
	v_pk_add_f16 v183, v30, v33 neg_lo:[0,1] neg_hi:[0,1]
	v_mul_f16_sdwa v187, v185, v45 dst_sel:DWORD dst_unused:UNUSED_PAD src0_sel:WORD_1 src1_sel:DWORD
	v_pk_add_f16 v182, v31, v32 neg_lo:[0,1] neg_hi:[0,1]
	v_add_f16_e32 v27, v28, v27
	v_fmamk_f16 v28, v61, 0x3b76, v107
	v_lshrrev_b32_e32 v190, 16, v186
	v_mul_f16_e32 v191, 0xb964, v185
	v_mul_f16_e32 v161, 0xbbf7, v183
	;; [unrolled: 1-line block ×3, first 2 shown]
	v_add_f16_e32 v26, v28, v26
	v_fmamk_f16 v28, v61, 0xbacd, v116
	v_mul_f16_e32 v167, 0xb1e1, v181
	v_mul_f16_e32 v170, 0x3836, v180
	v_lshrrev_b32_e32 v173, 16, v145
	v_mul_f16_e32 v174, 0x3bb2, v172
	v_add_f16_e32 v27, v28, v27
	v_fmamk_f16 v28, v66, 0x2de8, v106
	v_mul_f16_e32 v176, 0x3b29, v177
	s_waitcnt_vscnt null, 0x0
	s_barrier
	buffer_gl0_inv
	v_add_f16_e32 v26, v28, v26
	v_fmamk_f16 v28, v66, 0xb8d2, v115
	v_mul_f16_e32 v197, 0xba62, v183
	v_mul_f16_sdwa v200, v183, v97 dst_sel:DWORD dst_unused:UNUSED_PAD src0_sel:WORD_1 src1_sel:DWORD
	v_mul_f16_e32 v203, 0xb1e1, v183
	v_mul_f16_sdwa v156, v182, v156 dst_sel:DWORD dst_unused:UNUSED_PAD src0_sel:WORD_1 src1_sel:DWORD
	v_add_f16_e32 v28, v28, v27
	v_fmamk_f16 v27, v104, 0xbacd, v105
	v_mul_f16_sdwa v153, v181, v153 dst_sel:DWORD dst_unused:UNUSED_PAD src0_sel:WORD_1 src1_sel:DWORD
	v_mul_f16_sdwa v146, v183, v146 dst_sel:DWORD dst_unused:UNUSED_PAD src0_sel:WORD_1 src1_sel:DWORD
	v_mul_f16_e32 v231, 0x3bb2, v183
	v_mul_f16_e32 v253, 0x3b29, v183
	v_add_f16_e32 v27, v27, v26
	v_fmamk_f16 v26, v104, 0x39e9, v114
	v_add_f16_e32 v26, v26, v28
	v_fmamk_f16 v28, v42, 0xb461, v129
	v_add_f16_e32 v28, v28, v0
	v_add_f16_e32 v28, v29, v28
	v_fmamk_f16 v29, v42, 0xb8d2, v137
	v_add_f16_e32 v29, v29, v0
	;; [unrolled: 3-line block ×3, first 2 shown]
	v_fmamk_f16 v110, v53, 0x3b76, v136
	v_add_f16_e32 v29, v110, v29
	v_fmamk_f16 v110, v56, 0x3722, v126
	v_add_f16_e32 v28, v110, v28
	;; [unrolled: 2-line block ×11, first 2 shown]
	v_pk_add_f16 v110, v16, v17
	v_fma_f16 v17, v186, 0x3b76, -v187
	v_fmac_f16_e32 v187, 0x3b76, v186
	v_pk_add_f16 v110, v110, v30
	v_pk_add_f16 v110, v110, v31
	v_pk_add_f16 v110, v110, v34
	v_pk_add_f16 v110, v110, v35
	v_pk_add_f16 v110, v110, v40
	v_pk_add_f16 v40, v38, v41
	v_pk_add_f16 v110, v110, v41
	v_lshrrev_b32_e32 v175, 16, v40
	v_pk_add_f16 v41, v110, v18
	v_pk_add_f16 v41, v41, v19
	;; [unrolled: 1-line block ×7, first 2 shown]
	v_lshrrev_b32_e32 v166, 16, v38
	v_lshrrev_b32_e32 v169, 16, v34
	v_pk_add_f16 v36, v35, v37
	v_pk_add_f16 v35, v33, v30
	;; [unrolled: 1-line block ×4, first 2 shown]
	v_lshrrev_b32_e32 v159, 16, v35
	v_pk_mul_f16 v41, 0x3722b8d2, v30
	v_lshrrev_b32_e32 v163, 16, v30
	v_fma_f16 v201, v35, 0xbbdd, -v200
	v_pk_add_f16 v184, v31, v33
	v_add_f16_e32 v31, v16, v17
	v_mul_f16_sdwa v17, v183, v138 dst_sel:DWORD dst_unused:UNUSED_PAD src0_sel:WORD_1 src1_sel:DWORD
	v_fmamk_f16 v37, v159, 0x2de8, v161
	v_pk_fma_f16 v160, 0xba62bb29, v182, v41 op_sel:[0,0,1] op_sel_hi:[1,1,0]
	v_fmamk_f16 v198, v159, 0xb8d2, v197
	v_fmamk_f16 v204, v159, 0xbbdd, v203
	v_fma_f16 v32, v35, 0x39e9, -v17
	v_fmamk_f16 v232, v159, 0xb461, v231
	v_mul_f16_sdwa v138, v172, v138 dst_sel:DWORD dst_unused:UNUSED_PAD src0_sel:WORD_1 src1_sel:DWORD
	v_fmamk_f16 v254, v159, 0x3722, v253
	v_fmac_f16_e32 v200, 0xbbdd, v35
	v_add_f16_e32 v33, v32, v31
	v_pk_mul_f16 v31, 0x3b7639e9, v186
	v_pk_mul_f16 v32, 0x39e92de8, v35
	v_fmac_f16_e32 v17, 0x39e9, v35
	v_pk_fma_f16 v188, 0xb964b5c8, v185, v31 op_sel:[0,0,1] op_sel_hi:[1,1,0] neg_lo:[0,1,0] neg_hi:[0,1,0]
	v_pk_fma_f16 v189, 0xb964b5c8, v185, v31 op_sel:[0,0,1] op_sel_hi:[1,1,0]
	v_pk_fma_f16 v31, 0xbbf7b964, v183, v32 op_sel:[0,0,1] op_sel_hi:[1,1,0] neg_lo:[0,1,0] neg_hi:[0,1,0]
	v_pk_fma_f16 v158, 0xbbf7b964, v183, v32 op_sel:[0,0,1] op_sel_hi:[1,1,0]
	v_bfi_b32 v32, 0xffff, v189, v188
	v_bfi_b32 v36, 0xffff, v158, v31
	v_pk_add_f16 v32, v16, v32 op_sel:[1,0] op_sel_hi:[0,1]
	v_pk_add_f16 v36, v36, v32
	v_fmamk_f16 v32, v190, 0x39e9, v191
	v_add_f16_sdwa v32, v16, v32 dst_sel:DWORD dst_unused:UNUSED_PAD src0_sel:WORD_1 src1_sel:DWORD
	v_add_f16_e32 v37, v37, v32
	v_mul_f16_sdwa v32, v182, v140 dst_sel:DWORD dst_unused:UNUSED_PAD src0_sel:WORD_1 src1_sel:DWORD
	v_fma_f16 v39, v30, 0x3722, -v32
	v_fmac_f16_e32 v32, 0x3722, v30
	v_add_f16_e32 v39, v39, v33
	v_pk_fma_f16 v33, 0xba62bb29, v182, v41 op_sel:[0,0,1] op_sel_hi:[1,1,0] neg_lo:[0,1,0] neg_hi:[0,1,0]
	v_bfi_b32 v41, 0xffff, v160, v33
	v_pk_add_f16 v41, v41, v36
	v_fmamk_f16 v36, v163, 0xb8d2, v164
	v_add_f16_e32 v110, v36, v37
	v_mul_f16_sdwa v36, v181, v47 dst_sel:DWORD dst_unused:UNUSED_PAD src0_sel:WORD_1 src1_sel:DWORD
	v_fma_f16 v37, v38, 0x2de8, -v36
	v_fmac_f16_e32 v36, 0x2de8, v38
	v_add_f16_e32 v148, v37, v39
	v_pk_mul_f16 v39, 0x2de8bbdd, v38
	v_pk_fma_f16 v37, 0xb1e1bbf7, v181, v39 op_sel:[0,0,1] op_sel_hi:[1,1,0] neg_lo:[0,1,0] neg_hi:[0,1,0]
	v_pk_fma_f16 v162, 0xb1e1bbf7, v181, v39 op_sel:[0,0,1] op_sel_hi:[1,1,0]
	v_bfi_b32 v39, 0xffff, v162, v37
	v_pk_add_f16 v149, v39, v41
	v_fmamk_f16 v39, v166, 0xbbdd, v167
	v_add_f16_e32 v110, v39, v110
	v_mul_f16_sdwa v39, v180, v102 dst_sel:DWORD dst_unused:UNUSED_PAD src0_sel:WORD_1 src1_sel:DWORD
	v_fma_f16 v41, v34, 0xb461, -v39
	v_fmac_f16_e32 v39, 0xb461, v34
	v_add_f16_e32 v150, v41, v148
	v_pk_mul_f16 v148, 0xb461bacd, v34
	v_pk_fma_f16 v41, 0x3836bbb2, v180, v148 op_sel:[0,0,1] op_sel_hi:[1,1,0] neg_lo:[0,1,0] neg_hi:[0,1,0]
	v_pk_fma_f16 v165, 0x3836bbb2, v180, v148 op_sel:[0,0,1] op_sel_hi:[1,1,0]
	;; [unrolled: 11-line block ×4, first 2 shown]
	v_bfi_b32 v154, 0xffff, v171, v151
	v_pk_add_f16 v157, v154, v155
	v_pk_add_f16 v155, v19, v18
	v_fmamk_f16 v154, v175, 0x3722, v176
	v_pk_add_f16 v18, v18, v19 neg_lo:[0,1] neg_hi:[0,1]
	v_pk_mul_f16 v19, 0xbbdd3b76, v155
	v_add_f16_e32 v110, v154, v110
	v_mul_f16_e32 v179, 0x35c8, v18
	v_pk_fma_f16 v154, 0x35c8b1e1, v18, v19 op_sel:[0,0,1] op_sel_hi:[1,1,0] neg_lo:[0,1,0] neg_hi:[0,1,0]
	v_pk_fma_f16 v178, 0x35c8b1e1, v18, v19 op_sel:[0,0,1] op_sel_hi:[1,1,0]
	v_bfi_b32 v178, 0xffff, v178, v154
	v_pk_add_f16 v193, v178, v157
	v_lshrrev_b32_e32 v178, 16, v155
	v_fmamk_f16 v157, v178, 0x3b76, v179
	v_add_f16_e32 v110, v157, v110
	v_mul_f16_sdwa v157, v18, v97 dst_sel:DWORD dst_unused:UNUSED_PAD src0_sel:WORD_1 src1_sel:DWORD
	v_fma_f16 v194, v155, 0xbbdd, -v157
	v_fmac_f16_e32 v157, 0xbbdd, v155
	v_add_f16_e32 v192, v194, v192
	v_alignbit_b32 v194, v110, v193, 16
	v_mul_lo_u16 v110, v87, 17
	v_pack_b32_f16 v192, v192, v193
	v_and_b32_e32 v110, 0xffff, v110
	v_lshl_add_u32 v110, v110, 2, v93
	ds_write2_b32 v110, v192, v194 offset0:1 offset1:2
	v_mul_f16_sdwa v192, v185, v140 dst_sel:DWORD dst_unused:UNUSED_PAD src0_sel:WORD_1 src1_sel:DWORD
	v_mul_f16_sdwa v194, v183, v144 dst_sel:DWORD dst_unused:UNUSED_PAD src0_sel:WORD_1 src1_sel:DWORD
	v_fma_f16 v193, v186, 0x3722, -v192
	v_fma_f16 v195, v35, 0xb8d2, -v194
	v_fmac_f16_e32 v192, 0x3722, v186
	v_fmac_f16_e32 v194, 0xb8d2, v35
	v_add_f16_e32 v193, v16, v193
	v_add_f16_e32 v193, v195, v193
	v_mul_f16_e32 v195, 0xbb29, v185
	v_fmamk_f16 v196, v190, 0x3722, v195
	v_add_f16_sdwa v196, v16, v196 dst_sel:DWORD dst_unused:UNUSED_PAD src0_sel:WORD_1 src1_sel:DWORD
	v_add_f16_e32 v196, v198, v196
	v_mul_f16_sdwa v198, v185, v47 dst_sel:DWORD dst_unused:UNUSED_PAD src0_sel:WORD_1 src1_sel:DWORD
	v_fma_f16 v199, v186, 0x2de8, -v198
	v_fmac_f16_e32 v198, 0x2de8, v186
	v_add_f16_e32 v199, v16, v199
	v_add_f16_e32 v199, v201, v199
	v_mul_f16_e32 v201, 0xbbf7, v185
	v_fmamk_f16 v202, v190, 0x2de8, v201
	v_add_f16_sdwa v202, v16, v202 dst_sel:DWORD dst_unused:UNUSED_PAD src0_sel:WORD_1 src1_sel:DWORD
	v_add_f16_e32 v202, v204, v202
	v_fma_f16 v204, v30, 0xbbdd, -v156
	v_fmac_f16_e32 v156, 0xbbdd, v30
	v_add_f16_e32 v193, v204, v193
	v_mul_f16_e32 v204, 0x31e1, v182
	v_fmamk_f16 v205, v163, 0xbbdd, v204
	v_add_f16_e32 v196, v205, v196
	v_mul_f16_sdwa v205, v182, v147 dst_sel:DWORD dst_unused:UNUSED_PAD src0_sel:WORD_1 src1_sel:DWORD
	v_fma_f16 v206, v30, 0xb461, -v205
	v_fmac_f16_e32 v205, 0xb461, v30
	v_add_f16_e32 v199, v206, v199
	v_mul_f16_e32 v206, 0x3bb2, v182
	v_fmamk_f16 v207, v163, 0xb461, v206
	v_add_f16_e32 v202, v207, v202
	v_mul_f16_sdwa v207, v181, v147 dst_sel:DWORD dst_unused:UNUSED_PAD src0_sel:WORD_1 src1_sel:DWORD
	v_mul_f16_sdwa v147, v183, v147 dst_sel:DWORD dst_unused:UNUSED_PAD src0_sel:WORD_1 src1_sel:DWORD
	v_fma_f16 v208, v38, 0xb461, -v207
	v_fma_f16 v229, v35, 0xb461, -v147
	v_fmac_f16_e32 v147, 0xb461, v35
	v_fmac_f16_e32 v207, 0xb461, v38
	v_add_f16_e32 v193, v208, v193
	v_mul_f16_e32 v208, 0x3bb2, v181
	v_fmamk_f16 v209, v166, 0xb461, v208
	v_add_f16_e32 v196, v209, v196
	v_fma_f16 v209, v38, 0x3b76, -v153
	v_fmac_f16_e32 v153, 0x3b76, v38
	v_add_f16_e32 v199, v209, v199
	v_mul_f16_e32 v209, 0x35c8, v181
	v_fmamk_f16 v210, v166, 0x3b76, v209
	v_add_f16_e32 v202, v210, v202
	v_mul_f16_sdwa v210, v180, v139 dst_sel:DWORD dst_unused:UNUSED_PAD src0_sel:WORD_1 src1_sel:DWORD
	v_fma_f16 v211, v34, 0x39e9, -v210
	v_fmac_f16_e32 v210, 0x39e9, v34
	v_add_f16_e32 v193, v211, v193
	v_mul_f16_e32 v211, 0x3964, v180
	v_fmamk_f16 v212, v169, 0x39e9, v211
	v_add_f16_e32 v196, v212, v196
	v_mul_f16_sdwa v212, v180, v140 dst_sel:DWORD dst_unused:UNUSED_PAD src0_sel:WORD_1 src1_sel:DWORD
	v_mul_f16_sdwa v140, v181, v140 dst_sel:DWORD dst_unused:UNUSED_PAD src0_sel:WORD_1 src1_sel:DWORD
	v_fma_f16 v213, v34, 0x3722, -v212
	v_fmac_f16_e32 v212, 0x3722, v34
	v_add_f16_e32 v199, v213, v199
	v_mul_f16_e32 v213, 0xbb29, v180
	v_fmamk_f16 v214, v169, 0x3722, v213
	v_add_f16_e32 v202, v214, v202
	v_mul_f16_sdwa v214, v172, v45 dst_sel:DWORD dst_unused:UNUSED_PAD src0_sel:WORD_1 src1_sel:DWORD
	v_fma_f16 v215, v145, 0x3b76, -v214
	v_fmac_f16_e32 v214, 0x3b76, v145
	v_add_f16_e32 v193, v215, v193
	v_mul_f16_e32 v215, 0xb5c8, v172
	v_fmamk_f16 v216, v173, 0x3b76, v215
	v_add_f16_e32 v196, v216, v196
	;; [unrolled: 7-line block ×5, first 2 shown]
	v_mul_f16_sdwa v222, v18, v141 dst_sel:DWORD dst_unused:UNUSED_PAD src0_sel:WORD_1 src1_sel:DWORD
	v_fma_f16 v223, v155, 0xbacd, -v222
	v_fmac_f16_e32 v222, 0xbacd, v155
	v_add_f16_e32 v193, v223, v193
	v_mul_f16_sdwa v223, v18, v139 dst_sel:DWORD dst_unused:UNUSED_PAD src0_sel:WORD_1 src1_sel:DWORD
	v_fma_f16 v224, v155, 0x39e9, -v223
	v_fmac_f16_e32 v223, 0x39e9, v155
	v_add_f16_e32 v199, v224, v199
	v_mul_f16_e32 v224, 0x3964, v18
	v_fmamk_f16 v225, v178, 0x39e9, v224
	v_add_f16_e32 v202, v225, v202
	v_mul_f16_e32 v225, 0xbacd, v178
	v_pack_b32_f16 v199, v199, v202
	v_fmamk_f16 v226, v18, 0xb836, v225
	v_add_f16_e32 v196, v226, v196
	v_mul_f16_e32 v226, 0x3836, v183
	v_pack_b32_f16 v193, v193, v196
	v_fmamk_f16 v227, v159, 0xbacd, v226
	ds_write2_b32 v110, v193, v199 offset0:3 offset1:4
	v_mul_f16_sdwa v193, v185, v102 dst_sel:DWORD dst_unused:UNUSED_PAD src0_sel:WORD_1 src1_sel:DWORD
	v_fma_f16 v199, v35, 0xbacd, -v146
	v_fmac_f16_e32 v146, 0xbacd, v35
	v_fma_f16 v196, v186, 0xb461, -v193
	v_fmac_f16_e32 v193, 0xb461, v186
	v_add_f16_e32 v196, v16, v196
	v_add_f16_e32 v196, v199, v196
	v_mul_f16_e32 v199, 0xbbb2, v185
	v_fmamk_f16 v202, v190, 0xb461, v199
	v_add_f16_sdwa v202, v16, v202 dst_sel:DWORD dst_unused:UNUSED_PAD src0_sel:WORD_1 src1_sel:DWORD
	v_add_f16_e32 v202, v227, v202
	v_mul_f16_sdwa v227, v185, v144 dst_sel:DWORD dst_unused:UNUSED_PAD src0_sel:WORD_1 src1_sel:DWORD
	v_mul_f16_sdwa v144, v18, v144 dst_sel:DWORD dst_unused:UNUSED_PAD src0_sel:WORD_1 src1_sel:DWORD
	v_fma_f16 v228, v186, 0xb8d2, -v227
	v_fmac_f16_e32 v227, 0xb8d2, v186
	v_add_f16_e32 v228, v16, v228
	v_add_f16_e32 v228, v229, v228
	v_mul_f16_e32 v229, 0xba62, v185
	v_fmamk_f16 v230, v190, 0xb8d2, v229
	v_add_f16_sdwa v230, v16, v230 dst_sel:DWORD dst_unused:UNUSED_PAD src0_sel:WORD_1 src1_sel:DWORD
	v_add_f16_e32 v230, v232, v230
	v_mul_f16_sdwa v232, v182, v139 dst_sel:DWORD dst_unused:UNUSED_PAD src0_sel:WORD_1 src1_sel:DWORD
	v_fma_f16 v233, v30, 0x39e9, -v232
	v_fmac_f16_e32 v232, 0x39e9, v30
	v_add_f16_e32 v196, v233, v196
	v_mul_f16_e32 v233, 0x3964, v182
	v_fmamk_f16 v234, v163, 0x39e9, v233
	v_add_f16_e32 v202, v234, v202
	v_mul_f16_sdwa v234, v182, v45 dst_sel:DWORD dst_unused:UNUSED_PAD src0_sel:WORD_1 src1_sel:DWORD
	v_fma_f16 v235, v30, 0x3b76, -v234
	v_fmac_f16_e32 v234, 0x3b76, v30
	v_add_f16_e32 v228, v235, v228
	v_mul_f16_e32 v235, 0xb5c8, v182
	v_fmamk_f16 v236, v163, 0x3b76, v235
	v_add_f16_e32 v230, v236, v230
	v_fma_f16 v236, v38, 0x3722, -v140
	v_fmac_f16_e32 v140, 0x3722, v38
	v_add_f16_e32 v196, v236, v196
	v_mul_f16_e32 v236, 0xbb29, v181
	v_fmamk_f16 v237, v166, 0x3722, v236
	v_add_f16_e32 v202, v237, v202
	v_mul_f16_sdwa v237, v181, v141 dst_sel:DWORD dst_unused:UNUSED_PAD src0_sel:WORD_1 src1_sel:DWORD
	v_fma_f16 v238, v38, 0xbacd, -v237
	v_fmac_f16_e32 v237, 0xbacd, v38
	v_add_f16_e32 v228, v238, v228
	v_mul_f16_e32 v238, 0xb836, v181
	v_fmamk_f16 v239, v166, 0xbacd, v238
	v_add_f16_e32 v230, v239, v230
	v_mul_f16_sdwa v239, v180, v97 dst_sel:DWORD dst_unused:UNUSED_PAD src0_sel:WORD_1 src1_sel:DWORD
	;; [unrolled: 7-line block ×3, first 2 shown]
	v_mul_f16_sdwa v152, v172, v152 dst_sel:DWORD dst_unused:UNUSED_PAD src0_sel:WORD_1 src1_sel:DWORD
	v_fma_f16 v242, v34, 0x2de8, -v241
	v_fmac_f16_e32 v241, 0x2de8, v34
	v_add_f16_e32 v228, v242, v228
	v_mul_f16_e32 v242, 0x3bf7, v180
	v_fmamk_f16 v243, v169, 0x2de8, v242
	v_add_f16_e32 v230, v243, v230
	v_fma_f16 v243, v145, 0x2de8, -v152
	v_fmac_f16_e32 v152, 0x2de8, v145
	v_add_f16_e32 v196, v243, v196
	v_mul_f16_e32 v243, 0x3bf7, v172
	v_fmamk_f16 v244, v173, 0x2de8, v243
	v_add_f16_e32 v202, v244, v202
	;; [unrolled: 6-line block ×3, first 2 shown]
	v_mul_f16_sdwa v245, v177, v45 dst_sel:DWORD dst_unused:UNUSED_PAD src0_sel:WORD_1 src1_sel:DWORD
	v_fma_f16 v246, v40, 0x3b76, -v245
	v_fmac_f16_e32 v245, 0x3b76, v40
	v_add_f16_e32 v196, v246, v196
	v_mul_f16_e32 v246, 0xb5c8, v177
	v_fmamk_f16 v247, v175, 0x3b76, v246
	v_add_f16_e32 v202, v247, v202
	v_mul_f16_sdwa v247, v177, v97 dst_sel:DWORD dst_unused:UNUSED_PAD src0_sel:WORD_1 src1_sel:DWORD
	v_fma_f16 v248, v40, 0xbbdd, -v247
	v_fmac_f16_e32 v247, 0xbbdd, v40
	v_add_f16_e32 v228, v248, v228
	v_mul_f16_e32 v248, 0xb1e1, v177
	v_fmamk_f16 v249, v175, 0xbbdd, v248
	v_add_f16_e32 v230, v249, v230
	v_fma_f16 v249, v155, 0xb8d2, -v144
	v_fmac_f16_e32 v144, 0xb8d2, v155
	v_add_f16_e32 v196, v249, v196
	v_mul_f16_sdwa v249, v18, v143 dst_sel:DWORD dst_unused:UNUSED_PAD src0_sel:WORD_1 src1_sel:DWORD
	v_fma_f16 v250, v155, 0x3722, -v249
	v_fmac_f16_e32 v249, 0x3722, v155
	v_add_f16_e32 v228, v250, v228
	v_mul_f16_e32 v250, 0x3b29, v18
	v_fmamk_f16 v251, v178, 0x3722, v250
	v_add_f16_e32 v230, v251, v230
	v_mul_f16_e32 v251, 0xba62, v18
	v_pack_b32_f16 v228, v228, v230
	v_fmamk_f16 v252, v178, 0xb8d2, v251
	v_add_f16_e32 v202, v252, v202
	v_pack_b32_f16 v196, v196, v202
	ds_write2_b32 v110, v196, v228 offset0:5 offset1:6
	v_mul_f16_sdwa v196, v185, v141 dst_sel:DWORD dst_unused:UNUSED_PAD src0_sel:WORD_1 src1_sel:DWORD
	v_mul_f16_sdwa v228, v183, v143 dst_sel:DWORD dst_unused:UNUSED_PAD src0_sel:WORD_1 src1_sel:DWORD
	v_fma_f16 v202, v186, 0xbacd, -v196
	v_fma_f16 v230, v35, 0x3722, -v228
	v_fmac_f16_e32 v196, 0xbacd, v186
	v_pk_mul_f16 v186, 0xbbdd, v186 op_sel_hi:[0,1]
	v_fmac_f16_e32 v228, 0x3722, v35
	v_add_f16_e32 v202, v16, v202
	v_add_f16_e32 v202, v230, v202
	v_mul_f16_e32 v230, 0xb836, v185
	v_fmamk_f16 v252, v190, 0xbacd, v230
	v_add_f16_sdwa v252, v16, v252 dst_sel:DWORD dst_unused:UNUSED_PAD src0_sel:WORD_1 src1_sel:DWORD
	v_add_f16_e32 v252, v254, v252
	v_mul_f16_sdwa v254, v182, v47 dst_sel:DWORD dst_unused:UNUSED_PAD src0_sel:WORD_1 src1_sel:DWORD
	v_mul_f16_sdwa v47, v96, v47 dst_sel:DWORD dst_unused:UNUSED_PAD src0_sel:WORD_1 src1_sel:DWORD
	v_fma_f16 v255, v30, 0x2de8, -v254
	v_fmac_f16_e32 v254, 0x2de8, v30
	v_add_f16_e32 v202, v255, v202
	v_mul_f16_e32 v255, 0xbbf7, v182
	v_fmamk_f16 v71, v163, 0x2de8, v255
	v_add_f16_e32 v71, v71, v252
	v_mul_f16_sdwa v252, v181, v142 dst_sel:DWORD dst_unused:UNUSED_PAD src0_sel:WORD_1 src1_sel:DWORD
	v_fma_f16 v73, v38, 0xb8d2, -v252
	v_fmac_f16_e32 v252, 0xb8d2, v38
	v_add_f16_e32 v73, v73, v202
	v_mul_f16_e32 v202, 0x3a62, v181
	v_fmamk_f16 v78, v166, 0xb8d2, v202
	v_add_f16_e32 v71, v78, v71
	v_mul_f16_sdwa v78, v180, v45 dst_sel:DWORD dst_unused:UNUSED_PAD src0_sel:WORD_1 src1_sel:DWORD
	v_mul_f16_sdwa v45, v99, v45 dst_sel:DWORD dst_unused:UNUSED_PAD src0_sel:WORD_1 src1_sel:DWORD
	v_fma_f16 v83, v34, 0x3b76, -v78
	v_fmac_f16_e32 v78, 0x3b76, v34
	v_add_f16_e32 v73, v83, v73
	v_mul_f16_e32 v83, 0xb5c8, v180
	v_fmamk_f16 v48, v169, 0x3b76, v83
	v_fma_f16 v83, v169, 0x3b76, -v83
	v_add_f16_e32 v48, v48, v71
	v_mul_f16_sdwa v71, v172, v97 dst_sel:DWORD dst_unused:UNUSED_PAD src0_sel:WORD_1 src1_sel:DWORD
	v_fma_f16 v49, v145, 0xbbdd, -v71
	v_fmac_f16_e32 v71, 0xbbdd, v145
	v_add_f16_e32 v49, v49, v73
	v_mul_f16_e32 v73, 0xb1e1, v172
	v_fmamk_f16 v50, v173, 0xbbdd, v73
	v_fma_f16 v73, v173, 0xbbdd, -v73
	v_add_f16_e32 v48, v50, v48
	v_mul_f16_sdwa v50, v177, v139 dst_sel:DWORD dst_unused:UNUSED_PAD src0_sel:WORD_1 src1_sel:DWORD
	v_fma_f16 v51, v40, 0x39e9, -v50
	v_fmac_f16_e32 v50, 0x39e9, v40
	v_add_f16_e32 v49, v51, v49
	v_mul_f16_e32 v51, 0x3964, v177
	v_fmamk_f16 v52, v175, 0x39e9, v51
	v_fma_f16 v51, v175, 0x39e9, -v51
	v_add_f16_e32 v48, v52, v48
	v_mul_f16_sdwa v52, v18, v102 dst_sel:DWORD dst_unused:UNUSED_PAD src0_sel:WORD_1 src1_sel:DWORD
	v_fma_f16 v54, v155, 0xb461, -v52
	v_fmac_f16_e32 v52, 0xb461, v155
	v_add_f16_e32 v49, v54, v49
	v_mul_f16_e32 v54, 0xbbb2, v18
	v_fmamk_f16 v55, v178, 0xb461, v54
	v_add_f16_e32 v48, v55, v48
	v_pk_add_f16 v55, v184, v95
	v_fma_f16 v95, v190, 0xb461, -v199
	v_fma_f16 v184, v190, 0xb8d2, -v229
	v_mul_f16_e32 v199, 0xb1e1, v101
	v_pack_b32_f16 v48, v49, v48
	v_fma_f16 v49, v190, 0x3722, -v195
	v_add_f16_sdwa v95, v16, v95 dst_sel:DWORD dst_unused:UNUSED_PAD src0_sel:WORD_1 src1_sel:DWORD
	v_add_f16_sdwa v184, v16, v184 dst_sel:DWORD dst_unused:UNUSED_PAD src0_sel:WORD_1 src1_sel:DWORD
	v_add_f16_e32 v195, v16, v196
	ds_write2_b32 v110, v55, v48 offset1:7
	v_fma_f16 v48, v190, 0x39e9, -v191
	v_fma_f16 v55, v190, 0x2de8, -v201
	;; [unrolled: 1-line block ×3, first 2 shown]
	v_pk_fma_f16 v191, 0xb1e1, v185, v186 op_sel:[0,0,1] op_sel_hi:[0,1,0] neg_lo:[0,1,0] neg_hi:[0,1,0]
	v_pk_fma_f16 v185, 0xb1e1, v185, v186 op_sel:[0,0,1] op_sel_hi:[0,1,0]
	v_add_f16_e32 v201, v16, v187
	v_pk_add_f16 v186, v16, v189 op_sel:[1,0] op_sel_hi:[0,1]
	v_add_f16_sdwa v48, v16, v48 dst_sel:DWORD dst_unused:UNUSED_PAD src0_sel:WORD_1 src1_sel:DWORD
	v_add_f16_e32 v187, v16, v192
	v_add_f16_sdwa v49, v16, v49 dst_sel:DWORD dst_unused:UNUSED_PAD src0_sel:WORD_1 src1_sel:DWORD
	v_add_f16_e32 v189, v16, v198
	;; [unrolled: 2-line block ×3, first 2 shown]
	v_add_f16_e32 v193, v16, v227
	v_add_f16_sdwa v190, v16, v190 dst_sel:DWORD dst_unused:UNUSED_PAD src0_sel:WORD_1 src1_sel:DWORD
	v_add_f16_sdwa v227, v16, v188 dst_sel:DWORD dst_unused:UNUSED_PAD src0_sel:WORD_1 src1_sel:DWORD
	v_pk_add_f16 v188, v16, v191 op_sel:[1,0] op_sel_hi:[0,1]
	v_pk_add_f16 v16, v16, v185 op_sel:[1,0] op_sel_hi:[0,1]
	v_pk_mul_f16 v185, 0x3b76, v35 op_sel_hi:[0,1]
	v_mul_f16_e32 v196, 0x3bf7, v99
	v_mul_f16_e32 v198, 0xba62, v103
	v_pk_mul_f16 v35, 0xb461b8d2, v58
	v_add_f16_e32 v17, v17, v201
	v_pk_fma_f16 v191, 0x35c8, v183, v185 op_sel:[0,0,1] op_sel_hi:[0,1,0] neg_lo:[0,1,0] neg_hi:[0,1,0]
	v_pk_fma_f16 v183, 0x35c8, v183, v185 op_sel:[0,0,1] op_sel_hi:[0,1,0]
	v_add_f16_e32 v32, v32, v17
	v_pk_add_f16 v185, v191, v188
	v_pk_add_f16 v16, v183, v16
	v_pk_mul_f16 v183, 0xbacd, v30 op_sel_hi:[0,1]
	v_mul_f16_e32 v191, 0xb1e1, v99
	v_add_f16_e32 v30, v31, v227
	v_pk_mul_f16 v17, 0xb8d23722, v61
	v_add_f16_e32 v32, v36, v32
	v_pk_fma_f16 v188, 0xb836, v182, v183 op_sel:[0,0,1] op_sel_hi:[0,1,0] neg_lo:[0,1,0] neg_hi:[0,1,0]
	v_pk_fma_f16 v182, 0xb836, v182, v183 op_sel:[0,0,1] op_sel_hi:[0,1,0]
	v_add_f16_e32 v30, v33, v30
	v_add_f16_e32 v32, v39, v32
	v_pk_add_f16 v183, v188, v185
	v_pk_add_f16 v16, v182, v16
	v_pk_mul_f16 v182, 0x39e9, v38 op_sel_hi:[0,1]
	v_mul_f16_e32 v188, 0xb836, v103
	v_add_f16_e32 v30, v37, v30
	v_add_f16_e32 v32, v148, v32
	v_pk_fma_f16 v185, 0x3964, v181, v182 op_sel:[0,0,1] op_sel_hi:[0,1,0] neg_lo:[0,1,0] neg_hi:[0,1,0]
	v_pk_fma_f16 v181, 0x3964, v181, v182 op_sel:[0,0,1] op_sel_hi:[0,1,0]
	v_pk_add_f16 v182, v185, v183
	v_pk_add_f16 v16, v181, v16
	v_pk_mul_f16 v181, 0xb8d2, v34 op_sel_hi:[0,1]
	v_mul_f16_e32 v185, 0x3964, v96
	v_mul_f16_e32 v34, 0xbbb2, v103
	v_pk_fma_f16 v183, 0xba62, v180, v181 op_sel:[0,0,1] op_sel_hi:[0,1,0] neg_lo:[0,1,0] neg_hi:[0,1,0]
	v_pk_fma_f16 v180, 0xba62, v180, v181 op_sel:[0,0,1] op_sel_hi:[0,1,0]
	v_pk_add_f16 v181, v183, v182
	v_pk_add_f16 v16, v180, v16
	v_pk_mul_f16 v180, 0x3722, v145 op_sel_hi:[0,1]
	v_mul_f16_e32 v183, 0xba62, v46
	v_pk_fma_f16 v182, 0x3b29, v172, v180 op_sel:[0,0,1] op_sel_hi:[0,1,0] neg_lo:[0,1,0] neg_hi:[0,1,0]
	v_pk_fma_f16 v172, 0x3b29, v172, v180 op_sel:[0,0,1] op_sel_hi:[0,1,0]
	v_pk_add_f16 v180, v182, v181
	v_pk_add_f16 v16, v172, v16
	v_pk_mul_f16 v172, 0xb461, v40 op_sel_hi:[0,1]
	;; [unrolled: 6-line block ×3, first 2 shown]
	v_mul_f16_e32 v181, 0xbb29, v99
	v_pk_fma_f16 v180, 0x3bf7, v18, v172 op_sel:[0,0,1] op_sel_hi:[0,1,0] neg_lo:[0,1,0] neg_hi:[0,1,0]
	v_pk_fma_f16 v172, 0x3bf7, v18, v172 op_sel:[0,0,1] op_sel_hi:[0,1,0]
	v_pk_add_f16 v177, v180, v177
	v_pk_add_f16 v16, v172, v16
	v_fma_f16 v180, v163, 0x3b76, -v235
	v_alignbit_b32 v172, v177, v16, 16
	v_alignbit_b32 v16, v16, v177, 16
	v_fma_f16 v177, v159, 0x3722, -v253
	ds_write2_b32 v110, v16, v172 offset0:8 offset1:9
	v_add_f16_e32 v16, v147, v193
	v_fma_f16 v147, v159, 0xb461, -v231
	v_add_f16_e32 v172, v228, v195
	v_add_f16_e32 v177, v177, v190
	v_mul_f16_e32 v190, 0xb5c8, v96
	v_add_f16_e32 v16, v234, v16
	v_add_f16_e32 v147, v147, v184
	;; [unrolled: 1-line block ×3, first 2 shown]
	v_mul_f16_e32 v184, 0x3bb2, v94
	v_mul_f16_e32 v193, 0xb836, v98
	v_add_f16_e32 v16, v237, v16
	v_add_f16_e32 v147, v180, v147
	v_fma_f16 v180, v163, 0x2de8, -v255
	v_add_f16_e32 v172, v252, v172
	v_mul_f16_e32 v195, 0xb5c8, v101
	v_add_f16_e32 v16, v241, v16
	v_add_f16_e32 v177, v180, v177
	v_fma_f16 v180, v166, 0xbacd, -v238
	v_add_f16_e32 v78, v78, v172
	v_add_f16_e32 v16, v138, v16
	v_fma_f16 v138, v173, 0x39e9, -v244
	v_pk_mul_f16 v172, 0x39e93b76, v43
	v_add_f16_e32 v147, v180, v147
	v_fma_f16 v180, v166, 0xb8d2, -v202
	v_add_f16_e32 v71, v71, v78
	v_fma_f16 v78, v175, 0xbbdd, -v248
	v_add_f16_e32 v16, v247, v16
	v_add_f16_e32 v177, v180, v177
	v_fma_f16 v180, v169, 0x2de8, -v242
	v_add_f16_e32 v50, v50, v71
	v_fma_f16 v71, v178, 0x3722, -v250
	v_add_f16_e32 v16, v249, v16
	v_add_f16_e32 v83, v83, v177
	;; [unrolled: 1-line block ×4, first 2 shown]
	v_fma_f16 v52, v178, 0xb461, -v54
	v_fma_f16 v54, v163, 0xb461, -v206
	v_add_f16_e32 v73, v73, v83
	v_add_f16_e32 v138, v138, v147
	v_mul_f16_e32 v147, 0xba62, v94
	v_mul_f16_e32 v180, 0xb5c8, v100
	v_pk_mul_f16 v177, 0x3722bacd, v53
	v_add_f16_e32 v51, v51, v73
	v_add_f16_e32 v78, v78, v138
	v_lshrrev_b32_e32 v138, 16, v43
	v_mul_f16_e32 v73, 0x3b29, v94
	v_add_f16_e32 v51, v52, v51
	v_add_f16_e32 v71, v71, v78
	v_fma_f16 v52, v159, 0xbacd, -v226
	v_fmamk_f16 v78, v138, 0x3722, v73
	v_pack_b32_f16 v50, v50, v51
	v_pack_b32_f16 v16, v16, v71
	v_add_f16_e32 v52, v52, v95
	v_add_f16_e32 v51, v146, v192
	v_lshrrev_b32_e32 v146, 16, v53
	v_mul_f16_e32 v192, 0x3bf7, v100
	ds_write2_b32 v110, v50, v16 offset0:10 offset1:11
	v_fma_f16 v50, v159, 0xbbdd, -v203
	v_add_f16_e32 v16, v200, v189
	v_add_f16_e32 v51, v232, v51
	v_mul_f16_e32 v189, 0x3a62, v101
	v_mul_f16_e32 v200, 0x3b29, v103
	v_add_f16_e32 v50, v50, v55
	v_add_f16_e32 v16, v205, v16
	;; [unrolled: 1-line block ×3, first 2 shown]
	v_mul_f16_e32 v140, 0xb964, v46
	v_add_f16_e32 v50, v54, v50
	v_fma_f16 v54, v163, 0x39e9, -v233
	v_add_f16_e32 v16, v153, v16
	v_add_f16_e32 v51, v239, v51
	v_mul_f16_e32 v153, 0xbb29, v46
	v_add_f16_e32 v52, v54, v52
	v_fma_f16 v54, v166, 0x3b76, -v209
	v_add_f16_e32 v16, v212, v16
	v_add_f16_e32 v51, v152, v51
	v_pk_mul_f16 v152, 0xba62bbb2, v99
	v_add_f16_e32 v50, v54, v50
	v_fma_f16 v54, v166, 0x3722, -v236
	v_add_f16_e32 v16, v216, v16
	v_add_f16_e32 v51, v245, v51
	;; [unrolled: 1-line block ×3, first 2 shown]
	v_fma_f16 v54, v169, 0x3722, -v213
	v_add_f16_e32 v16, v220, v16
	v_add_f16_e32 v51, v144, v51
	v_lshrrev_b32_e32 v144, 16, v42
	v_add_f16_e32 v50, v54, v50
	v_fma_f16 v54, v169, 0xbbdd, -v240
	v_add_f16_e32 v16, v223, v16
	v_add_f16_e32 v52, v54, v52
	v_fma_f16 v54, v173, 0xbacd, -v217
	v_add_f16_e32 v50, v54, v50
	v_fma_f16 v54, v173, 0x2de8, -v243
	v_add_f16_e32 v52, v54, v52
	v_fma_f16 v54, v175, 0xb8d2, -v221
	v_add_f16_e32 v50, v54, v50
	v_fma_f16 v54, v175, 0x3b76, -v246
	v_add_f16_e32 v52, v54, v52
	v_fma_f16 v54, v178, 0x39e9, -v224
	v_add_f16_e32 v50, v54, v50
	v_fma_f16 v54, v178, 0xb8d2, -v251
	v_pack_b32_f16 v16, v16, v50
	v_add_f16_e32 v52, v54, v52
	v_pack_b32_f16 v50, v51, v52
	v_pk_add_f16 v51, v158, v186
	v_add_f16_e32 v52, v194, v187
	v_lshrrev_b32_e32 v158, 16, v56
	v_mul_f16_e32 v187, 0xbb29, v98
	ds_write2_b32 v110, v50, v16 offset0:12 offset1:13
	v_fma_f16 v16, v159, 0x2de8, -v161
	v_fma_f16 v50, v159, 0xb8d2, -v197
	v_pk_add_f16 v51, v160, v51
	v_add_f16_e32 v52, v156, v52
	v_mul_f16_e32 v156, 0xb1e1, v98
	v_add_f16_e32 v16, v16, v48
	v_add_f16_e32 v48, v50, v49
	v_fma_f16 v49, v163, 0xb8d2, -v164
	v_fma_f16 v50, v163, 0xbbdd, -v204
	v_pk_add_f16 v51, v162, v51
	v_add_f16_e32 v52, v207, v52
	v_mul_f16_e32 v164, 0xbbf7, v46
	v_add_f16_e32 v16, v49, v16
	v_fma_f16 v49, v166, 0xbbdd, -v167
	v_add_f16_e32 v48, v50, v48
	v_fma_f16 v50, v166, 0xb461, -v208
	v_pk_add_f16 v51, v165, v51
	v_add_f16_e32 v52, v210, v52
	v_add_f16_e32 v16, v49, v16
	v_fma_f16 v49, v169, 0xbacd, -v170
	v_add_f16_e32 v48, v50, v48
	v_fma_f16 v50, v169, 0x39e9, -v211
	v_pk_add_f16 v51, v168, v51
	v_mul_f16_e32 v163, 0xb1e1, v94
	v_add_f16_e32 v16, v49, v16
	v_fma_f16 v49, v173, 0xb461, -v174
	v_add_f16_e32 v48, v50, v48
	v_fma_f16 v50, v173, 0x3b76, -v215
	v_mul_f16_e32 v162, 0x31e1, v96
	v_mul_f16_e32 v170, 0x3bb2, v96
	v_add_f16_e32 v16, v49, v16
	v_fma_f16 v49, v175, 0x2de8, -v219
	v_add_f16_e32 v48, v50, v48
	v_fma_f16 v50, v175, 0x3722, -v176
	v_mul_f16_e32 v176, 0x3836, v94
	v_mul_f16_e32 v167, 0x3bb2, v98
	v_pack_b32_f16 v19, v49, v19
	v_pk_mul_f16 v49, 0x35c8b1e1, v18
	v_mul_f16_e32 v18, 0xb836, v18
	v_add_f16_e32 v16, v50, v16
	v_fma_f16 v50, v178, 0x3b76, -v179
	v_mul_f16_e32 v178, 0xbbb2, v46
	v_bfi_b32 v48, 0xffff, v48, v49
	v_bfi_b32 v18, 0xffff, v18, v51
	v_pk_add_f16 v49, v171, v51
	v_add_f16_e32 v51, v214, v52
	v_add_f16_e32 v16, v50, v16
	v_pk_add_f16 v19, v19, v48
	v_pk_add_f16 v18, v225, v18 neg_lo:[0,1] neg_hi:[0,1]
	v_mul_f16_e32 v179, 0x35c8, v98
	v_add_f16_e32 v48, v218, v51
	v_lshrrev_b32_e32 v161, 16, v58
	v_mul_f16_e32 v160, 0x3836, v99
	v_bfi_b32 v18, 0xffff, v18, v49
	v_mul_f16_e32 v171, 0x3964, v99
	v_lshrrev_b32_e32 v166, 16, v61
	v_mul_f16_e32 v165, 0x3bb2, v100
	v_mul_f16_e32 v186, 0xb836, v100
	v_pk_add_f16 v18, v18, v19
	v_add_f16_e32 v19, v222, v48
	v_mul_f16_e32 v197, 0xb964, v100
	v_pk_mul_f16 v159, 0x3b29ba62, v100
	v_lshrrev_b32_e32 v169, 16, v66
	v_alignbit_b32 v16, v16, v18, 16
	v_pack_b32_f16 v18, v19, v18
	v_mul_f16_e32 v19, 0xbbf7, v94
	v_mul_f16_e32 v168, 0x3b29, v101
	v_lshrrev_b32_e32 v175, 16, v104
	v_mul_f16_e32 v174, 0x35c8, v103
	ds_write2_b32 v110, v18, v16 offset0:14 offset1:15
	v_fma_f16 v16, v144, 0x39e9, -v140
	v_fma_f16 v18, v138, 0x2de8, -v19
	v_mul_f16_e32 v194, 0x3964, v103
	v_pk_mul_f16 v173, 0x2de839e9, v56
	v_mul_f16_e32 v38, 0x3722, v166
	v_add_f16_sdwa v16, v16, v0 dst_sel:DWORD dst_unused:UNUSED_PAD src0_sel:DWORD src1_sel:WORD_1
	v_fma_f16 v31, v175, 0x3722, -v200
	v_fmamk_f16 v36, v175, 0xb461, v34
	v_mul_f16_e32 v37, 0xb461, v169
	v_bfi_b32 v38, 0xffff, v38, v159
	v_add_f16_e32 v48, v18, v16
	v_fma_f16 v16, v144, 0x3722, -v153
	v_fma_f16 v18, v138, 0xb8d2, -v147
	;; [unrolled: 1-line block ×3, first 2 shown]
	v_add_f16_sdwa v16, v16, v0 dst_sel:DWORD dst_unused:UNUSED_PAD src0_sel:DWORD src1_sel:WORD_1
	v_add_f16_e32 v49, v18, v16
	v_fma_f16 v16, v144, 0x2de8, -v164
	v_fma_f16 v18, v138, 0xbbdd, -v163
	v_add_f16_sdwa v16, v16, v0 dst_sel:DWORD dst_unused:UNUSED_PAD src0_sel:DWORD src1_sel:WORD_1
	v_add_f16_e32 v50, v18, v16
	v_fma_f16 v16, v144, 0xb461, -v178
	v_fma_f16 v18, v138, 0xbacd, -v176
	;; [unrolled: 4-line block ×3, first 2 shown]
	v_add_f16_sdwa v16, v16, v0 dst_sel:DWORD dst_unused:UNUSED_PAD src0_sel:DWORD src1_sel:WORD_1
	v_add_f16_e32 v52, v18, v16
	v_mul_f16_sdwa v16, v46, v141 dst_sel:DWORD dst_unused:UNUSED_PAD src0_sel:WORD_1 src1_sel:DWORD
	v_mul_f16_sdwa v18, v94, v143 dst_sel:DWORD dst_unused:UNUSED_PAD src0_sel:WORD_1 src1_sel:DWORD
	v_mul_f16_e32 v143, 0xba62, v96
	v_fma_f16 v54, v42, 0xbacd, -v16
	v_fma_f16 v55, v43, 0x3722, -v18
	v_fmac_f16_e32 v16, 0xbacd, v42
	v_fmac_f16_e32 v18, 0x3722, v43
	v_add_f16_e32 v54, v54, v0
	v_add_f16_e32 v16, v16, v0
	;; [unrolled: 1-line block ×3, first 2 shown]
	v_mul_f16_e32 v55, 0xb836, v46
	v_fmamk_f16 v71, v144, 0xbacd, v55
	v_add_f16_sdwa v71, v71, v0 dst_sel:DWORD dst_unused:UNUSED_PAD src0_sel:DWORD src1_sel:WORD_1
	v_add_f16_e32 v71, v78, v71
	v_add_f16_e32 v78, v18, v16
	v_fma_f16 v16, v144, 0xbacd, -v55
	v_fma_f16 v18, v138, 0x3722, -v73
	v_add_f16_sdwa v16, v16, v0 dst_sel:DWORD dst_unused:UNUSED_PAD src0_sel:DWORD src1_sel:WORD_1
	v_add_f16_e32 v55, v18, v16
	v_pk_mul_f16 v18, 0xb1e1b5c8, v46
	v_mul_f16_e32 v46, 0xb1e1, v46
	v_pk_fma_f16 v16, 0x3b76bbdd, v42, v18 op_sel:[0,0,1] op_sel_hi:[1,1,0] neg_lo:[0,0,1] neg_hi:[0,0,1]
	v_pk_add_f16 v73, v16, v0
	v_pk_mul_f16 v16, 0x35c8b964, v94
	v_pk_fma_f16 v83, 0x39e93b76, v43, v16 op_sel:[0,0,1] op_sel_hi:[1,1,0] neg_lo:[0,0,1] neg_hi:[0,0,1]
	v_pk_add_f16 v73, v83, v73
	v_mul_f16_e32 v83, 0x35c8, v94
	v_fma_f16 v94, v144, 0xbbdd, -v46
	v_fmamk_f16 v46, v144, 0xbbdd, v46
	v_fma_f16 v95, v138, 0x3b76, -v83
	v_add_f16_sdwa v94, v94, v0 dst_sel:DWORD dst_unused:UNUSED_PAD src0_sel:DWORD src1_sel:WORD_1
	v_pack_b32_f16 v46, v46, v172
	v_add_f16_e32 v94, v95, v94
	v_fma_f16 v95, v146, 0xb8d2, -v143
	v_add_f16_e32 v48, v95, v48
	v_fma_f16 v95, v146, 0xbbdd, -v162
	;; [unrolled: 2-line block ×6, first 2 shown]
	v_fmac_f16_e32 v47, 0x2de8, v53
	v_add_f16_e32 v54, v95, v54
	v_mul_f16_e32 v95, 0xbbf7, v96
	v_add_f16_e32 v47, v47, v78
	v_fmamk_f16 v141, v146, 0x2de8, v95
	v_fma_f16 v78, v146, 0x2de8, -v95
	v_add_f16_e32 v71, v141, v71
	v_pk_mul_f16 v141, 0xb836bb29, v96
	v_add_f16_e32 v55, v78, v55
	v_pk_fma_f16 v78, 0x3722bacd, v53, v141 op_sel:[0,0,1] op_sel_hi:[1,1,0] neg_lo:[0,0,1] neg_hi:[0,0,1]
	v_pk_add_f16 v73, v78, v73
	v_mul_f16_e32 v78, 0xb836, v96
	v_fma_f16 v95, v146, 0xbacd, -v78
	v_add_f16_e32 v94, v95, v94
	v_fma_f16 v95, v158, 0xbbdd, -v156
	v_add_f16_e32 v48, v95, v48
	;; [unrolled: 2-line block ×6, first 2 shown]
	v_mul_f16_sdwa v95, v98, v142 dst_sel:DWORD dst_unused:UNUSED_PAD src0_sel:WORD_1 src1_sel:DWORD
	v_fma_f16 v96, v56, 0xb8d2, -v95
	v_fmac_f16_e32 v95, 0xb8d2, v56
	v_add_f16_e32 v54, v96, v54
	v_mul_f16_e32 v96, 0x3a62, v98
	v_add_f16_e32 v47, v95, v47
	v_fmamk_f16 v142, v158, 0xb8d2, v96
	v_fma_f16 v95, v158, 0xb8d2, -v96
	v_add_f16_e32 v71, v142, v71
	v_pk_mul_f16 v142, 0x3964bbf7, v98
	v_add_f16_e32 v55, v95, v55
	v_mul_f16_e32 v98, 0x3964, v98
	v_pk_fma_f16 v95, 0x2de839e9, v56, v142 op_sel:[0,0,1] op_sel_hi:[1,1,0] neg_lo:[0,0,1] neg_hi:[0,0,1]
	v_pk_add_f16 v73, v95, v73
	v_fma_f16 v95, v158, 0x39e9, -v98
	v_add_f16_e32 v94, v95, v94
	v_fma_f16 v95, v161, 0xbacd, -v160
	v_add_f16_e32 v48, v95, v48
	;; [unrolled: 2-line block ×6, first 2 shown]
	v_fma_f16 v95, v58, 0x3b76, -v45
	v_fmac_f16_e32 v45, 0x3b76, v58
	v_add_f16_e32 v54, v95, v54
	v_mul_f16_e32 v95, 0xb5c8, v99
	v_add_f16_e32 v45, v45, v47
	v_fma_f16 v47, v161, 0x3b76, -v95
	v_fmamk_f16 v96, v161, 0x3b76, v95
	v_add_f16_e32 v47, v47, v55
	v_pk_fma_f16 v55, 0xb461b8d2, v58, v152 op_sel:[0,0,1] op_sel_hi:[1,1,0] neg_lo:[0,0,1] neg_hi:[0,0,1]
	v_add_f16_e32 v71, v96, v71
	v_pk_add_f16 v55, v55, v73
	v_mul_f16_e32 v73, 0xba62, v99
	v_fma_f16 v95, v161, 0xb8d2, -v73
	v_add_f16_e32 v94, v95, v94
	v_fma_f16 v95, v166, 0xb461, -v165
	v_add_f16_e32 v48, v95, v48
	;; [unrolled: 2-line block ×6, first 2 shown]
	v_mul_f16_sdwa v95, v100, v97 dst_sel:DWORD dst_unused:UNUSED_PAD src0_sel:WORD_1 src1_sel:DWORD
	v_fma_f16 v96, v61, 0xbbdd, -v95
	v_fmac_f16_e32 v95, 0xbbdd, v61
	v_add_f16_e32 v54, v96, v54
	v_mul_f16_e32 v96, 0xb1e1, v100
	v_add_f16_e32 v45, v95, v45
	v_mul_f16_e32 v100, 0x3b29, v100
	v_fma_f16 v95, v166, 0xbbdd, -v96
	v_fmamk_f16 v97, v166, 0xbbdd, v96
	v_pack_b32_f16 v33, v100, v17
	v_add_f16_e32 v47, v95, v47
	v_pk_fma_f16 v95, 0xb8d23722, v61, v159 op_sel:[0,0,1] op_sel_hi:[1,1,0] neg_lo:[0,0,1] neg_hi:[0,0,1]
	v_add_f16_e32 v71, v97, v71
	v_pk_add_f16 v33, v33, v38
	v_mul_f16_e32 v38, 0x3bf7, v103
	v_pk_add_f16 v55, v95, v55
	v_fma_f16 v95, v166, 0x3722, -v100
	v_add_f16_e32 v94, v95, v94
	v_fma_f16 v95, v169, 0x3722, -v168
	v_add_f16_e32 v48, v95, v48
	;; [unrolled: 2-line block ×6, first 2 shown]
	v_mul_f16_sdwa v95, v101, v139 dst_sel:DWORD dst_unused:UNUSED_PAD src0_sel:WORD_1 src1_sel:DWORD
	v_pk_mul_f16 v139, 0xbbb2b836, v101
	v_add_f16_e32 v99, v31, v52
	v_fma_f16 v96, v66, 0x39e9, -v95
	v_fmac_f16_e32 v95, 0x39e9, v66
	v_bfi_b32 v37, 0xffff, v37, v139
	v_add_f16_e32 v54, v96, v54
	v_mul_f16_e32 v96, 0x3964, v101
	v_add_f16_e32 v45, v95, v45
	v_mul_f16_e32 v101, 0xbbb2, v101
	v_fma_f16 v95, v169, 0x39e9, -v96
	v_fmamk_f16 v97, v169, 0x39e9, v96
	v_add_f16_e32 v47, v95, v47
	v_pk_fma_f16 v95, 0xbacdb461, v66, v139 op_sel:[0,0,1] op_sel_hi:[1,1,0] neg_lo:[0,0,1] neg_hi:[0,0,1]
	v_add_f16_e32 v71, v97, v71
	v_pk_add_f16 v55, v95, v55
	v_fma_f16 v95, v169, 0xb461, -v101
	v_add_f16_e32 v100, v36, v71
	v_add_f16_e32 v94, v95, v94
	v_fma_f16 v95, v175, 0x3b76, -v174
	v_add_f16_e32 v95, v95, v48
	v_pk_fma_f16 v48, 0x3b76bbdd, v42, v18 op_sel:[0,0,1] op_sel_hi:[1,1,0]
	v_pack_b32_f16 v48, v83, v48
	v_mul_f16_e32 v83, 0x3b76, v138
	v_perm_b32 v83, v0, v83, 0x5040100
	v_pk_add_f16 v48, v48, v83
	v_perm_b32 v83, v16, v0, 0x7060302
	v_pk_add_f16 v46, v46, v83
	v_fma_f16 v83, v175, 0xbacd, -v188
	v_pk_add_f16 v46, v46, v48
	v_add_f16_e32 v96, v83, v49
	v_mul_f16_e32 v49, 0xbacd, v146
	v_pack_b32_f16 v48, v78, v177
	v_bfi_b32 v49, 0xffff, v49, v141
	v_pk_add_f16 v48, v48, v49
	v_fma_f16 v49, v175, 0x39e9, -v194
	v_pk_add_f16 v46, v48, v46
	v_add_f16_e32 v97, v49, v50
	v_mul_f16_e32 v49, 0x39e9, v158
	v_pack_b32_f16 v48, v98, v173
	v_bfi_b32 v49, 0xffff, v49, v142
	;; [unrolled: 7-line block ×3, first 2 shown]
	v_pk_add_f16 v48, v48, v49
	v_pk_add_f16 v31, v48, v46
	;; [unrolled: 1-line block ×3, first 2 shown]
	v_add_f16_e32 v33, v41, v30
	v_pk_mul_f16 v30, 0xbacdb461, v66
	v_add_f16_e32 v33, v149, v33
	v_pack_b32_f16 v36, v101, v30
	v_add_f16_e32 v101, v34, v47
	v_add_f16_e32 v33, v151, v33
	v_pk_add_f16 v36, v36, v37
	v_mul_f16_sdwa v37, v103, v102 dst_sel:DWORD dst_unused:UNUSED_PAD src0_sel:WORD_1 src1_sel:DWORD
	v_add_f16_e32 v33, v154, v33
	v_pk_add_f16 v34, v36, v31
	v_add_f16_e32 v36, v150, v32
	v_pk_mul_f16 v32, 0x3bf7b1e1, v103
	v_mul_f16_e32 v31, 0x2de8, v175
	v_add_f16_e32 v36, v157, v36
	v_bfi_b32 v39, 0xffff, v31, v32
	v_pk_mul_f16 v31, 0xbbdd2de8, v104
	v_pack_b32_f16 v33, v36, v33
	v_pack_b32_f16 v40, v38, v31
	ds_write_b32 v110, v33 offset:64
	v_fma_f16 v33, v104, 0xb461, -v37
	v_fmac_f16_e32 v37, 0xb461, v104
	v_pk_add_f16 v39, v40, v39
	v_pk_fma_f16 v40, 0xbbdd2de8, v104, v32 op_sel:[0,0,1] op_sel_hi:[1,1,0] neg_lo:[0,0,1] neg_hi:[0,0,1]
	v_add_f16_e32 v46, v33, v54
	v_add_co_u32 v33, null, v87, 17
	v_pk_add_f16 v103, v39, v34
	v_fma_f16 v34, v175, 0x2de8, -v38
	v_pk_add_f16 v47, v40, v55
	v_add_f16_e32 v45, v37, v45
	v_add_f16_e32 v102, v34, v94
	v_mul_u32_u24_e32 v94, 17, v33
	s_and_saveexec_b32 s2, vcc_lo
	s_cbranch_execz .LBB0_7
; %bb.6:
	s_clause 0x1
	buffer_load_dword v39, off, s[20:23], 0 offset:32
	buffer_load_dword v40, off, s[20:23], 0 offset:28
	v_pk_add_f16 v1, v1, v0
	v_mul_f16_e32 v33, 0xbbdd, v43
	v_mul_f16_e32 v37, 0x39e9, v144
	v_mul_f16_e32 v38, 0x2de8, v138
	v_mul_f16_e32 v36, 0xb8d2, v43
	v_pk_add_f16 v1, v14, v1
	v_sub_f16_e32 v33, v33, v120
	v_add_f16_e32 v37, v140, v37
	v_add_f16_e32 v19, v19, v38
	v_mul_f16_e32 v38, 0x39e9, v42
	v_pk_add_f16 v1, v15, v1
	v_mul_f16_e32 v14, 0xb461, v43
	v_add_f16_sdwa v37, v37, v0 dst_sel:DWORD dst_unused:UNUSED_PAD src0_sel:DWORD src1_sel:WORD_1
	v_mul_f16_e32 v15, 0x39e9, v166
	v_sub_f16_e32 v36, v36, v111
	v_pk_add_f16 v1, v12, v1
	v_mul_f16_e32 v12, 0xb8d2, v42
	v_add_f16_e32 v19, v19, v37
	v_mul_f16_e32 v37, 0xb8d2, v146
	v_sub_f16_e32 v14, v14, v135
	v_pk_add_f16 v1, v13, v1
	v_mul_f16_e32 v13, 0x2de8, v161
	v_sub_f16_e32 v12, v12, v137
	v_add_f16_e32 v37, v143, v37
	v_add_f16_e32 v15, v197, v15
	v_pk_add_f16 v1, v10, v1
	v_mul_f16_e32 v10, 0x3b76, v146
	v_add_f16_e32 v13, v196, v13
	v_add_f16_e32 v19, v37, v19
	v_mul_f16_e32 v37, 0xbbdd, v158
	v_pk_add_f16 v1, v11, v1
	v_add_f16_e32 v10, v190, v10
	v_mul_f16_e32 v11, 0xbacd, v158
	v_alignbit_b32 v18, v18, v18, 16
	v_add_f16_e32 v37, v156, v37
	v_pk_add_f16 v1, v8, v1
	v_mul_f16_e32 v8, 0xb8d2, v144
	v_add_f16_e32 v11, v193, v11
	v_mul_f16_e32 v34, 0xb8d2, v138
	v_add_f16_e32 v19, v37, v19
	v_pk_add_f16 v1, v9, v1
	v_add_f16_e32 v8, v183, v8
	v_mul_f16_e32 v9, 0xb461, v138
	v_mul_f16_e32 v37, 0xbacd, v161
	v_add_f16_e32 v34, v147, v34
	v_alignbit_b32 v16, v16, v16, 16
	v_add_f16_sdwa v8, v8, v0 dst_sel:DWORD dst_unused:UNUSED_PAD src0_sel:DWORD src1_sel:WORD_1
	v_add_f16_e32 v9, v184, v9
	v_add_f16_e32 v37, v160, v37
	v_alignbit_b32 v41, v141, v141, 16
	v_pk_add_f16 v16, v16, v172
	v_alignbit_b32 v50, v152, v152, 16
	v_add_f16_e32 v8, v9, v8
	v_add_f16_e32 v19, v37, v19
	v_mul_f16_e32 v9, 0x3b76, v53
	v_pk_add_f16 v1, v6, v1
	v_alignbit_b32 v51, v159, v159, 16
	v_add_f16_e32 v8, v10, v8
	v_mul_f16_e32 v10, 0xb461, v144
	v_sub_f16_e32 v9, v9, v136
	v_pk_add_f16 v1, v7, v1
	v_alignbit_b32 v52, v139, v139, 16
	v_add_f16_e32 v8, v11, v8
	v_add_f16_e32 v10, v178, v10
	;; [unrolled: 1-line block ×3, first 2 shown]
	v_mul_f16_e32 v12, 0xbbdd, v169
	v_pk_add_f16 v7, v51, v17
	v_add_f16_e32 v8, v13, v8
	v_mul_f16_e32 v13, 0xbacd, v138
	v_add_f16_sdwa v10, v10, v0 dst_sel:DWORD dst_unused:UNUSED_PAD src0_sel:DWORD src1_sel:WORD_1
	v_add_f16_e32 v11, v14, v11
	v_add_f16_e32 v12, v199, v12
	;; [unrolled: 1-line block ×4, first 2 shown]
	v_mul_f16_e32 v15, 0xbbdd, v138
	v_add_f16_e32 v9, v9, v11
	v_mul_f16_e32 v11, 0xbacd, v56
	v_add_f16_e32 v8, v12, v8
	v_add_f16_e32 v10, v13, v10
	v_mul_f16_e32 v13, 0x39e9, v146
	v_add_f16_e32 v15, v163, v15
	v_sub_f16_e32 v11, v11, v134
	v_mul_f16_e32 v12, 0x3722, v175
	v_mul_f16_e32 v14, 0xbacd, v43
	v_add_f16_e32 v13, v185, v13
	v_pk_add_f16 v1, v4, v1
	v_add_f16_e32 v9, v11, v9
	v_mul_f16_e32 v11, 0x2de8, v58
	v_add_f16_e32 v12, v200, v12
	v_add_f16_e32 v10, v13, v10
	v_mul_f16_e32 v13, 0x3722, v158
	v_sub_f16_e32 v14, v14, v128
	v_sub_f16_e32 v11, v11, v133
	v_add_f16_e32 v8, v12, v8
	v_mul_f16_e32 v12, 0xb461, v42
	v_add_f16_e32 v13, v187, v13
	v_mul_f16_e32 v48, 0xbbdd, v104
	;; [unrolled: 2-line block ×3, first 2 shown]
	v_sub_f16_e32 v12, v12, v129
	v_add_f16_e32 v10, v13, v10
	v_mul_f16_e32 v13, 0xbbdd, v161
	v_alignbit_b32 v32, v32, v32, 16
	v_sub_f16_e32 v11, v11, v132
	v_add_f16_e32 v12, v12, v0
	v_pk_add_f16 v1, v5, v1
	v_add_f16_e32 v13, v191, v13
	v_bfi_b32 v5, 0xffff, v65, v31
	v_add_f16_e32 v9, v11, v9
	v_mul_f16_e32 v11, 0xbbdd, v66
	v_add_f16_e32 v12, v14, v12
	v_add_f16_e32 v10, v13, v10
	v_mul_f16_e32 v13, 0x2de8, v166
	v_mul_f16_e32 v14, 0x39e9, v53
	v_sub_f16_e32 v11, v11, v131
	v_mul_f16_e32 v49, 0x3b76, v104
	v_pk_add_f16 v1, v2, v1
	v_add_f16_e32 v13, v192, v13
	v_sub_f16_e32 v14, v14, v127
	v_add_f16_e32 v9, v11, v9
	v_mul_f16_e32 v11, 0x3722, v104
	v_pk_add_f16 v2, v48, v5 neg_lo:[0,1] neg_hi:[0,1]
	v_add_f16_e32 v10, v13, v10
	v_mul_f16_e32 v13, 0x3b76, v169
	v_add_f16_e32 v12, v14, v12
	v_sub_f16_e32 v11, v11, v130
	v_mul_f16_e32 v14, 0x3722, v56
	v_pk_add_f16 v1, v3, v1
	v_add_f16_e32 v13, v195, v13
	v_add_f16_e32 v9, v11, v9
	v_mul_f16_e32 v11, 0x2de8, v144
	v_sub_f16_e32 v14, v14, v126
	v_add_f16_e32 v10, v13, v10
	v_mul_f16_e32 v13, 0xb8d2, v175
	v_pk_add_f16 v1, v20, v1
	v_add_f16_e32 v11, v164, v11
	v_add_f16_e32 v12, v14, v12
	v_mul_f16_e32 v14, 0xbbdd, v58
	v_add_f16_e32 v13, v198, v13
	v_add_f16_sdwa v11, v11, v0 dst_sel:DWORD dst_unused:UNUSED_PAD src0_sel:DWORD src1_sel:WORD_1
	v_sub_f16_e32 v14, v14, v125
	v_add_f16_e32 v10, v13, v10
	v_mul_f16_e32 v13, 0x2de8, v42
	v_add_f16_e32 v11, v15, v11
	v_mul_f16_e32 v15, 0xb461, v146
	v_add_f16_e32 v12, v14, v12
	v_mul_f16_e32 v14, 0x2de8, v61
	v_sub_f16_e32 v13, v13, v121
	v_add_f16_e32 v15, v170, v15
	v_sub_f16_e32 v14, v14, v124
	v_add_f16_e32 v13, v13, v0
	v_add_f16_e32 v11, v15, v11
	v_mul_f16_e32 v15, 0x3b76, v158
	v_add_f16_e32 v12, v14, v12
	v_add_f16_e32 v13, v33, v13
	v_mul_f16_e32 v33, 0xb461, v53
	v_mul_f16_e32 v14, 0x3b76, v66
	v_add_f16_e32 v15, v179, v15
	v_sub_f16_e32 v33, v33, v119
	v_sub_f16_e32 v14, v14, v123
	v_add_f16_e32 v11, v15, v11
	v_mul_f16_e32 v15, 0x3722, v161
	v_add_f16_e32 v13, v33, v13
	v_mul_f16_e32 v33, 0x3b76, v56
	v_add_f16_e32 v12, v14, v12
	v_add_f16_e32 v15, v181, v15
	v_mul_f16_e32 v14, 0xb8d2, v104
	v_sub_f16_e32 v33, v33, v118
	v_add_f16_e32 v11, v15, v11
	v_mul_f16_e32 v15, 0xbacd, v166
	v_sub_f16_e32 v14, v14, v122
	v_add_f16_e32 v13, v33, v13
	v_mul_f16_e32 v33, 0x3722, v58
	v_add_f16_e32 v15, v186, v15
	v_add_f16_e32 v12, v14, v12
	v_mul_f16_e32 v14, 0x3722, v144
	v_sub_f16_e32 v33, v33, v117
	v_add_f16_e32 v11, v15, v11
	v_mul_f16_e32 v15, 0xb8d2, v169
	v_add_f16_e32 v14, v153, v14
	v_add_f16_e32 v13, v33, v13
	v_mul_f16_e32 v33, 0xbacd, v61
	v_add_f16_e32 v15, v189, v15
	v_add_f16_sdwa v14, v14, v0 dst_sel:DWORD dst_unused:UNUSED_PAD src0_sel:DWORD src1_sel:WORD_1
	v_sub_f16_e32 v33, v33, v116
	v_add_f16_e32 v11, v15, v11
	v_mul_f16_e32 v15, 0x39e9, v175
	v_add_f16_e32 v14, v34, v14
	v_add_f16_e32 v13, v33, v13
	v_mul_f16_e32 v33, 0xb8d2, v66
	v_mul_f16_e32 v34, 0xbbdd, v146
	v_add_f16_e32 v15, v194, v15
	v_sub_f16_e32 v33, v33, v115
	v_add_f16_e32 v34, v162, v34
	v_add_f16_e32 v11, v15, v11
	v_mul_f16_e32 v15, 0x3722, v42
	v_add_f16_e32 v13, v33, v13
	v_mul_f16_e32 v33, 0x39e9, v104
	v_add_f16_e32 v14, v34, v14
	v_sub_f16_e32 v15, v15, v113
	v_mul_f16_e32 v34, 0xb461, v158
	v_sub_f16_e32 v33, v33, v114
	v_add_f16_e32 v15, v15, v0
	v_add_f16_e32 v34, v167, v34
	;; [unrolled: 1-line block ×4, first 2 shown]
	v_mul_f16_e32 v36, 0xbbdd, v53
	v_add_f16_e32 v14, v34, v14
	v_mul_f16_e32 v34, 0x39e9, v161
	v_sub_f16_e32 v36, v36, v112
	v_add_f16_e32 v34, v171, v34
	v_add_f16_e32 v15, v36, v15
	v_mul_f16_e32 v36, 0xb461, v56
	v_add_f16_e32 v14, v34, v14
	v_mul_f16_e32 v34, 0x3b76, v166
	v_sub_f16_e32 v36, v36, v109
	v_add_f16_e32 v34, v180, v34
	v_add_f16_e32 v15, v36, v15
	;; [unrolled: 6-line block ×4, first 2 shown]
	v_mul_f16_e32 v36, 0x2de8, v66
	v_add_f16_e32 v14, v34, v14
	v_mul_f16_e32 v34, 0xb461, v61
	v_sub_f16_e32 v36, v36, v106
	v_sub_f16_e32 v34, v34, v69
	v_add_f16_e32 v15, v36, v15
	v_mul_f16_e32 v36, 0xb461, v166
	v_add_f16_e32 v36, v165, v36
	v_add_f16_e32 v19, v36, v19
	v_mul_f16_e32 v36, 0x3722, v169
	v_add_f16_e32 v36, v168, v36
	v_add_f16_e32 v19, v36, v19
	v_pk_mul_f16 v36, 0x3b76bbdd, v42
	v_pk_add_f16 v18, v18, v36
	s_waitcnt vmcnt(1)
	v_sub_f16_e32 v38, v38, v39
	v_mul_f16_e32 v39, 0x2de8, v43
	v_add_f16_e32 v38, v38, v0
	s_waitcnt vmcnt(0)
	v_sub_f16_e32 v39, v39, v40
	buffer_load_dword v40, off, s[20:23], 0 offset:36 ; 4-byte Folded Reload
	v_add_f16_e32 v38, v39, v38
	v_mul_f16_e32 v39, 0xb8d2, v53
	v_sub_f16_e32 v39, v39, v59
	v_add_f16_e32 v37, v39, v38
	v_mul_f16_e32 v38, 0xbbdd, v56
	v_mul_f16_e32 v39, 0xbacd, v104
	v_sub_f16_e32 v38, v38, v63
	v_sub_f16_e32 v39, v39, v105
	v_add_f16_e32 v37, v38, v37
	v_mul_f16_e32 v38, 0xbacd, v58
	v_add_f16_e32 v15, v39, v15
	v_mul_f16_e32 v39, 0x3722, v53
	v_sub_f16_e32 v38, v38, v67
	v_add_f16_e32 v33, v38, v37
	buffer_load_dword v38, off, s[20:23], 0 offset:24 ; 4-byte Folded Reload
	v_mul_f16_e32 v37, 0x3b76, v42
	v_mul_f16_e32 v42, 0xb8d2, v61
	v_add_f16_e32 v33, v34, v33
	v_mul_f16_e32 v34, 0x39e9, v43
	v_mul_f16_e32 v43, 0x3722, v66
	s_waitcnt vmcnt(1)
	v_bfi_b32 v40, 0xffff, v40, v177
	s_waitcnt vmcnt(0)
	v_bfi_b32 v38, 0xffff, v38, v36
	v_mul_f16_e32 v36, 0x3b76, v175
	v_pk_add_f16 v37, v37, v38 neg_lo:[0,1] neg_hi:[0,1]
	buffer_load_dword v38, off, s[20:23], 0 offset:20 ; 4-byte Folded Reload
	v_add_f16_e32 v36, v174, v36
	v_bfi_b32 v18, 0xffff, v37, v18
	v_pk_add_f16 v37, v39, v40 neg_lo:[0,1] neg_hi:[0,1]
	buffer_load_dword v40, off, s[20:23], 0 offset:40 ; 4-byte Folded Reload
	v_mul_f16_e32 v39, 0x2de8, v56
	v_add_f16_e32 v3, v36, v19
	v_pk_add_f16 v0, v18, v0
	v_bfi_b32 v18, 0xffff, v57, v35
	s_waitcnt vmcnt(1)
	v_bfi_b32 v38, 0xffff, v38, v172
	v_pk_add_f16 v34, v34, v38 neg_lo:[0,1] neg_hi:[0,1]
	v_pk_add_f16 v38, v41, v177
	v_alignbit_b32 v41, v142, v142, 16
	s_waitcnt vmcnt(0)
	v_bfi_b32 v40, 0xffff, v40, v173
	v_bfi_b32 v16, 0xffff, v34, v16
	v_mul_f16_e32 v34, 0xb461, v58
	v_pk_add_f16 v41, v41, v173
	v_bfi_b32 v37, 0xffff, v37, v38
	v_pk_add_f16 v39, v39, v40 neg_lo:[0,1] neg_hi:[0,1]
	v_pk_add_f16 v0, v16, v0
	v_pk_add_f16 v6, v34, v18 neg_lo:[0,1] neg_hi:[0,1]
	v_pk_add_f16 v16, v50, v35
	v_mul_f16_e32 v40, 0xbacd, v66
	v_bfi_b32 v38, 0xffff, v39, v41
	v_bfi_b32 v39, 0xffff, v60, v17
	v_pk_add_f16 v0, v37, v0
	v_bfi_b32 v17, 0xffff, v62, v30
	v_bfi_b32 v6, 0xffff, v6, v16
	v_pk_add_f16 v16, v52, v30
	v_pk_add_f16 v18, v42, v39 neg_lo:[0,1] neg_hi:[0,1]
	v_pk_add_f16 v0, v38, v0
	v_bfi_b32 v4, 0xffff, v18, v7
	v_pk_add_f16 v7, v40, v17 neg_lo:[0,1] neg_hi:[0,1]
	v_pk_add_f16 v0, v6, v0
	v_sub_f16_e32 v6, v43, v64
	v_bfi_b32 v7, 0xffff, v7, v16
	v_pk_add_f16 v0, v4, v0
	v_pk_add_f16 v4, v32, v31
	v_add_f16_e32 v5, v6, v33
	v_sub_f16_e32 v6, v49, v68
	v_pk_add_f16 v0, v7, v0
	v_bfi_b32 v2, 0xffff, v2, v4
	v_pack_b32_f16 v7, v9, v8
	v_add_f16_e32 v4, v6, v5
	v_lshl_add_u32 v5, v94, 2, v93
	v_pack_b32_f16 v6, v13, v11
	v_perm_b32 v8, v100, v46, 0x5040100
	v_bfi_b32 v9, 0xffff, v25, v47
	v_pk_add_f16 v0, v2, v0
	v_pack_b32_f16 v2, v15, v14
	v_pack_b32_f16 v3, v4, v3
	;; [unrolled: 1-line block ×3, first 2 shown]
	ds_write2_b32 v5, v1, v0 offset1:1
	ds_write2_b32 v5, v3, v2 offset0:2 offset1:3
	ds_write2_b32 v5, v6, v4 offset0:4 offset1:5
	;; [unrolled: 1-line block ×3, first 2 shown]
	v_perm_b32 v0, v103, v47, 0x5040100
	v_alignbit_b32 v1, v102, v103, 16
	v_perm_b32 v2, v99, v28, 0x5040100
	v_perm_b32 v3, v101, v45, 0x5040100
	;; [unrolled: 1-line block ×6, first 2 shown]
	ds_write2_b32 v5, v0, v1 offset0:8 offset1:9
	ds_write2_b32 v5, v3, v2 offset0:10 offset1:11
	;; [unrolled: 1-line block ×4, first 2 shown]
	ds_write_b32 v5, v9 offset:64
.LBB0_7:
	s_or_b32 exec_lo, exec_lo, s2
	v_lshlrev_b32_e32 v0, 3, v87
	s_waitcnt lgkmcnt(0)
	s_barrier
	buffer_gl0_inv
	v_add_nc_u16 v1, v87, 51
	global_load_dwordx2 v[30:31], v0, s[0:1]
	v_add_nc_u16 v0, v87, 34
	v_add_nc_u16 v2, v87, 0x44
	;; [unrolled: 1-line block ×4, first 2 shown]
	v_and_b32_e32 v7, 0xff, v1
	v_and_b32_e32 v5, 0xff, v0
	;; [unrolled: 1-line block ×5, first 2 shown]
	v_mul_lo_u16 v7, 0xf1, v7
	v_mul_lo_u16 v5, 0xf1, v5
	;; [unrolled: 1-line block ×4, first 2 shown]
	v_add_nc_u16 v4, v87, 0x66
	v_mul_lo_u16 v11, 0xf1, v11
	v_lshrrev_b16 v5, 12, v5
	v_lshrrev_b16 v7, 12, v7
	;; [unrolled: 1-line block ×4, first 2 shown]
	v_and_b32_e32 v10, 0xff, v4
	v_mul_lo_u16 v5, v5, 17
	v_mul_lo_u16 v7, v7, 17
	v_add_nc_u32_e32 v68, 0x400, v70
	v_mad_u64_u32 v[49:50], null, v87, 28, s[0:1]
	v_sub_nc_u16 v20, v0, v5
	v_lshrrev_b16 v0, 12, v11
	v_mul_lo_u16 v5, v8, 17
	v_mul_lo_u16 v8, v9, 17
	;; [unrolled: 1-line block ×3, first 2 shown]
	v_sub_nc_u16 v48, v1, v7
	v_mul_lo_u16 v0, v0, 17
	v_sub_nc_u16 v55, v2, v5
	v_sub_nc_u16 v56, v3, v8
	v_lshrrev_b16 v10, 12, v10
	v_lshlrev_b16 v1, 1, v20
	v_lshlrev_b16 v2, 1, v48
	;; [unrolled: 1-line block ×3, first 2 shown]
	v_sub_nc_u16 v58, v6, v0
	v_lshlrev_b16 v0, 1, v56
	v_mul_lo_u16 v7, v10, 17
	v_and_b32_e32 v1, 0xfe, v1
	v_and_b32_e32 v2, 0xfe, v2
	;; [unrolled: 1-line block ×4, first 2 shown]
	v_sub_nc_u16 v57, v4, v7
	v_lshlrev_b32_e32 v1, 2, v1
	v_lshlrev_b32_e32 v2, 2, v2
	;; [unrolled: 1-line block ×4, first 2 shown]
	v_and_b32_e32 v56, 0xff, v56
	s_clause 0x3
	global_load_dwordx2 v[42:43], v1, s[0:1]
	global_load_dwordx2 v[40:41], v2, s[0:1]
	;; [unrolled: 1-line block ×4, first 2 shown]
	v_lshlrev_b16 v1, 1, v57
	v_lshlrev_b16 v2, 1, v58
	v_and_b32_e32 v57, 0xff, v57
	v_and_b32_e32 v58, 0xff, v58
	v_lshl_add_u32 v106, v56, 2, v93
	v_and_b32_e32 v1, 0xfe, v1
	v_and_b32_e32 v2, 0xfe, v2
	v_lshl_add_u32 v105, v57, 2, v93
	v_lshl_add_u32 v104, v58, 2, v93
	v_and_b32_e32 v20, 0xff, v20
	v_lshlrev_b32_e32 v1, 2, v1
	v_lshlrev_b32_e32 v0, 2, v2
	s_clause 0x1
	global_load_dwordx2 v[34:35], v1, s[0:1]
	global_load_dwordx2 v[32:33], v0, s[0:1]
	ds_read2_b32 v[6:7], v70 offset1:17
	ds_read2_b32 v[8:9], v70 offset0:136 offset1:153
	ds_read2_b32 v[4:5], v70 offset0:34 offset1:51
	;; [unrolled: 1-line block ×11, first 2 shown]
	s_waitcnt vmcnt(0) lgkmcnt(0)
	s_barrier
	buffer_gl0_inv
	v_and_b32_e32 v48, 0xff, v48
	v_and_b32_e32 v55, 0xff, v55
	v_lshl_add_u32 v109, v20, 2, v93
	v_add_nc_u32_e32 v20, 0x200, v106
	s_add_u32 s0, s12, 0x660
	v_lshl_add_u32 v108, v48, 2, v93
	v_lshl_add_u32 v107, v55, 2, v93
	v_add_nc_u32_e32 v48, 0x400, v105
	v_add_nc_u32_e32 v55, 0x400, v104
	v_lshrrev_b32_e32 v59, 16, v6
	v_lshrrev_b32_e32 v60, 16, v8
	;; [unrolled: 1-line block ×24, first 2 shown]
	s_addc_u32 s1, s13, 0
	v_mul_f16_sdwa v56, v60, v30 dst_sel:DWORD dst_unused:UNUSED_PAD src0_sel:DWORD src1_sel:WORD_1
	v_mul_f16_sdwa v57, v8, v30 dst_sel:DWORD dst_unused:UNUSED_PAD src0_sel:DWORD src1_sel:WORD_1
	;; [unrolled: 1-line block ×8, first 2 shown]
	v_fma_f16 v8, v8, v30, -v56
	v_fmac_f16_e32 v57, v60, v30
	v_fma_f16 v16, v16, v31, -v58
	v_fmac_f16_e32 v121, v113, v31
	;; [unrolled: 2-line block ×4, first 2 shown]
	v_add_f16_e32 v58, v8, v16
	v_sub_f16_e32 v60, v57, v121
	v_add_f16_e32 v62, v59, v57
	v_add_f16_e32 v57, v57, v121
	;; [unrolled: 1-line block ×3, first 2 shown]
	v_sub_f16_e32 v122, v123, v125
	v_add_f16_e32 v124, v61, v123
	v_add_f16_e32 v123, v123, v125
	;; [unrolled: 1-line block ×3, first 2 shown]
	v_sub_f16_e32 v8, v8, v16
	v_add_f16_e32 v113, v7, v9
	v_fma_f16 v6, -0.5, v58, v6
	v_fmac_f16_e32 v59, -0.5, v57
	v_sub_f16_e32 v9, v9, v17
	v_fmac_f16_e32 v7, -0.5, v114
	v_fmac_f16_e32 v61, -0.5, v123
	v_add_f16_e32 v16, v56, v16
	v_add_f16_e32 v56, v62, v121
	;; [unrolled: 1-line block ×4, first 2 shown]
	v_fmamk_f16 v58, v60, 0x3aee, v6
	v_fmac_f16_e32 v6, 0xbaee, v60
	v_fmamk_f16 v60, v8, 0xbaee, v59
	v_fmac_f16_e32 v59, 0x3aee, v8
	;; [unrolled: 2-line block ×4, first 2 shown]
	v_pack_b32_f16 v9, v16, v56
	v_pack_b32_f16 v16, v17, v57
	v_pack_b32_f16 v17, v58, v60
	v_pack_b32_f16 v6, v6, v59
	v_pack_b32_f16 v8, v8, v62
	v_pack_b32_f16 v7, v7, v61
	ds_write2_b32 v70, v9, v17 offset1:17
	ds_write2_b32 v70, v6, v16 offset0:34 offset1:51
	ds_write2_b32 v70, v8, v7 offset0:68 offset1:85
	v_mul_f16_sdwa v6, v64, v42 dst_sel:DWORD dst_unused:UNUSED_PAD src0_sel:DWORD src1_sel:WORD_1
	v_mul_f16_sdwa v7, v10, v42 dst_sel:DWORD dst_unused:UNUSED_PAD src0_sel:DWORD src1_sel:WORD_1
	;; [unrolled: 1-line block ×16, first 2 shown]
	v_fma_f16 v6, v10, v42, -v6
	v_mul_f16_sdwa v122, v83, v34 dst_sel:DWORD dst_unused:UNUSED_PAD src0_sel:DWORD src1_sel:WORD_1
	v_mul_f16_sdwa v123, v14, v34 dst_sel:DWORD dst_unused:UNUSED_PAD src0_sel:DWORD src1_sel:WORD_1
	;; [unrolled: 1-line block ×8, first 2 shown]
	v_fmac_f16_e32 v7, v64, v42
	v_fma_f16 v8, v18, v43, -v8
	v_fmac_f16_e32 v9, v115, v43
	v_fma_f16 v10, v11, v40, -v16
	;; [unrolled: 2-line block ×11, first 2 shown]
	v_fmac_f16_e32 v129, v120, v33
	v_add_f16_e32 v53, v6, v8
	v_sub_f16_e32 v54, v7, v9
	v_add_f16_e32 v56, v63, v7
	v_add_f16_e32 v7, v7, v9
	v_add_f16_e32 v60, v10, v11
	v_sub_f16_e32 v62, v17, v57
	v_add_f16_e32 v64, v65, v17
	v_add_f16_e32 v17, v17, v57
	;; [unrolled: 4-line block ×4, first 2 shown]
	v_add_f16_e32 v118, v14, v19
	v_add_f16_e32 v122, v123, v125
	;; [unrolled: 1-line block ×3, first 2 shown]
	v_sub_f16_e32 v126, v127, v129
	v_add_f16_e32 v128, v111, v127
	v_add_f16_e32 v127, v127, v129
	;; [unrolled: 1-line block ×3, first 2 shown]
	v_sub_f16_e32 v6, v6, v8
	v_add_f16_e32 v58, v5, v10
	v_add_f16_e32 v66, v2, v12
	v_fma_f16 v4, -0.5, v53, v4
	v_fmac_f16_e32 v63, -0.5, v7
	v_sub_f16_e32 v10, v10, v11
	v_fmac_f16_e32 v5, -0.5, v60
	v_fmac_f16_e32 v65, -0.5, v17
	v_sub_f16_e32 v12, v12, v16
	v_add_f16_e32 v112, v3, v13
	v_sub_f16_e32 v13, v13, v18
	v_add_f16_e32 v117, v0, v14
	v_sub_f16_e32 v119, v123, v125
	v_add_f16_e32 v120, v78, v123
	v_sub_f16_e32 v14, v14, v19
	v_add_f16_e32 v123, v1, v15
	v_sub_f16_e32 v15, v15, v51
	v_fma_f16 v2, -0.5, v69, v2
	v_fmac_f16_e32 v67, -0.5, v59
	v_fmac_f16_e32 v3, -0.5, v114
	;; [unrolled: 1-line block ×3, first 2 shown]
	v_fma_f16 v0, -0.5, v118, v0
	v_fmac_f16_e32 v78, -0.5, v122
	v_fmac_f16_e32 v1, -0.5, v124
	;; [unrolled: 1-line block ×3, first 2 shown]
	v_add_f16_e32 v8, v52, v8
	v_add_f16_e32 v9, v56, v9
	v_add_f16_e32 v7, v58, v11
	v_add_f16_e32 v11, v64, v57
	v_add_f16_e32 v16, v66, v16
	v_add_f16_e32 v17, v83, v61
	v_fmamk_f16 v57, v54, 0x3aee, v4
	v_fmac_f16_e32 v4, 0xbaee, v54
	v_fmamk_f16 v54, v6, 0xbaee, v63
	v_fmac_f16_e32 v63, 0x3aee, v6
	v_fmamk_f16 v6, v62, 0x3aee, v5
	v_fmamk_f16 v58, v10, 0xbaee, v65
	v_fmac_f16_e32 v5, 0xbaee, v62
	v_fmac_f16_e32 v65, 0x3aee, v10
	v_add_f16_e32 v18, v112, v18
	v_add_f16_e32 v52, v116, v121
	;; [unrolled: 1-line block ×6, first 2 shown]
	v_fmamk_f16 v10, v73, 0x3aee, v2
	v_fmac_f16_e32 v2, 0xbaee, v73
	v_fmamk_f16 v59, v12, 0xbaee, v67
	v_fmac_f16_e32 v67, 0x3aee, v12
	;; [unrolled: 2-line block ×8, first 2 shown]
	v_pack_b32_f16 v8, v8, v9
	v_pack_b32_f16 v9, v16, v17
	;; [unrolled: 1-line block ×18, first 2 shown]
	ds_write2_b32 v109, v8, v17 offset0:102 offset1:119
	ds_write_b32 v109, v4 offset:544
	ds_write2_b32 v108, v7, v6 offset0:153 offset1:170
	ds_write_b32 v108, v5 offset:748
	ds_write2_b32 v107, v9, v10 offset0:204 offset1:221
	ds_write_b32 v107, v2 offset:952
	ds_write2_b32 v20, v11, v12 offset0:127 offset1:144
	ds_write_b32 v106, v3 offset:1156
	ds_write2_b32 v48, v15, v13 offset0:50 offset1:67
	ds_write_b32 v105, v0 offset:1360
	ds_write2_b32 v55, v16, v14 offset0:101 offset1:118
	ds_write_b32 v104, v1 offset:1564
	s_waitcnt lgkmcnt(0)
	s_barrier
	buffer_gl0_inv
	s_clause 0x5
	global_load_dwordx4 v[8:11], v[49:50], off offset:136
	global_load_dwordx3 v[18:20], v[49:50], off offset:152
	global_load_dwordx4 v[4:7], v[49:50], off offset:612
	global_load_dwordx3 v[15:17], v[49:50], off offset:628
	;; [unrolled: 2-line block ×3, first 2 shown]
	ds_read2_b32 v[49:50], v70 offset1:17
	ds_read2_b32 v[51:52], v70 offset0:34 offset1:51
	ds_read2_b32 v[55:56], v70 offset0:102 offset1:119
	;; [unrolled: 1-line block ×9, first 2 shown]
	buffer_load_dword v48, off, s[20:23], 0 offset:16 ; 4-byte Folded Reload
	ds_read2_b32 v[116:117], v68 offset0:16 offset1:33
	ds_read2_b32 v[118:119], v68 offset0:118 offset1:135
	v_lshlrev_b32_e32 v54, 2, v87
	s_waitcnt lgkmcnt(11)
	v_lshrrev_b32_e32 v121, 16, v50
	s_waitcnt lgkmcnt(10)
	v_lshrrev_b32_e32 v53, 16, v52
	;; [unrolled: 2-line block ×9, first 2 shown]
	v_lshrrev_b32_e32 v123, 16, v56
	s_waitcnt lgkmcnt(2)
	v_lshrrev_b32_e32 v124, 16, v114
	v_lshrrev_b32_e32 v125, 16, v60
	s_waitcnt lgkmcnt(1)
	v_lshrrev_b32_e32 v126, 16, v116
	;; [unrolled: 3-line block ×3, first 2 shown]
	v_lshrrev_b32_e32 v130, 16, v113
	v_lshrrev_b32_e32 v131, 16, v57
	;; [unrolled: 1-line block ×8, first 2 shown]
	s_waitcnt vmcnt(6)
	v_mul_f16_sdwa v137, v53, v8 dst_sel:DWORD dst_unused:UNUSED_PAD src0_sel:DWORD src1_sel:WORD_1
	v_mul_f16_sdwa v138, v52, v8 dst_sel:DWORD dst_unused:UNUSED_PAD src0_sel:DWORD src1_sel:WORD_1
	;; [unrolled: 1-line block ×8, first 2 shown]
	s_waitcnt vmcnt(5)
	v_mul_f16_sdwa v145, v78, v18 dst_sel:DWORD dst_unused:UNUSED_PAD src0_sel:DWORD src1_sel:WORD_1
	v_mul_f16_sdwa v146, v62, v18 dst_sel:DWORD dst_unused:UNUSED_PAD src0_sel:DWORD src1_sel:WORD_1
	;; [unrolled: 1-line block ×6, first 2 shown]
	s_waitcnt vmcnt(4)
	v_mul_f16_sdwa v151, v122, v4 dst_sel:DWORD dst_unused:UNUSED_PAD src0_sel:DWORD src1_sel:WORD_1
	v_mul_f16_sdwa v152, v112, v4 dst_sel:DWORD dst_unused:UNUSED_PAD src0_sel:DWORD src1_sel:WORD_1
	;; [unrolled: 1-line block ×8, first 2 shown]
	s_waitcnt vmcnt(3)
	v_mul_f16_sdwa v159, v126, v15 dst_sel:DWORD dst_unused:UNUSED_PAD src0_sel:DWORD src1_sel:WORD_1
	v_mul_f16_sdwa v160, v116, v15 dst_sel:DWORD dst_unused:UNUSED_PAD src0_sel:DWORD src1_sel:WORD_1
	;; [unrolled: 1-line block ×6, first 2 shown]
	s_waitcnt vmcnt(2)
	v_mul_f16_sdwa v165, v130, v0 dst_sel:DWORD dst_unused:UNUSED_PAD src0_sel:DWORD src1_sel:WORD_1
	v_mul_f16_sdwa v167, v131, v1 dst_sel:DWORD dst_unused:UNUSED_PAD src0_sel:DWORD src1_sel:WORD_1
	;; [unrolled: 1-line block ×5, first 2 shown]
	s_waitcnt vmcnt(1)
	v_mul_f16_sdwa v173, v134, v12 dst_sel:DWORD dst_unused:UNUSED_PAD src0_sel:DWORD src1_sel:WORD_1
	v_mul_f16_sdwa v175, v135, v13 dst_sel:DWORD dst_unused:UNUSED_PAD src0_sel:DWORD src1_sel:WORD_1
	;; [unrolled: 1-line block ×9, first 2 shown]
	s_waitcnt vmcnt(0)
	v_lshl_add_u32 v111, v48, 2, v44
	v_lshrrev_b32_e32 v48, 16, v49
	v_fma_f16 v52, v52, v8, -v137
	v_fmac_f16_e32 v138, v53, v8
	v_fma_f16 v53, v55, v9, -v139
	v_fmac_f16_e32 v140, v69, v9
	;; [unrolled: 2-line block ×14, first 2 shown]
	v_fma_f16 v78, v113, v0, -v165
	v_fma_f16 v57, v57, v1, -v167
	v_fmac_f16_e32 v168, v131, v1
	v_fmac_f16_e32 v170, v132, v2
	v_fma_f16 v61, v61, v3, -v171
	v_fma_f16 v112, v117, v12, -v173
	;; [unrolled: 1-line block ×3, first 2 shown]
	v_fmac_f16_e32 v176, v135, v13
	v_fmac_f16_e32 v178, v136, v14
	v_fmac_f16_e32 v166, v130, v0
	v_fma_f16 v83, v115, v2, -v169
	v_fmac_f16_e32 v172, v133, v3
	v_fmac_f16_e32 v174, v134, v12
	v_fma_f16 v113, v119, v14, -v177
	v_sub_f16_e32 v58, v49, v58
	v_sub_f16_e32 v114, v48, v144
	;; [unrolled: 1-line block ×24, first 2 shown]
	v_fma_f16 v127, v49, 2.0, -v58
	v_fma_f16 v49, v53, 2.0, -v62
	;; [unrolled: 1-line block ×5, first 2 shown]
	v_sub_f16_e32 v131, v58, v115
	v_add_f16_e32 v62, v114, v62
	v_sub_f16_e32 v117, v59, v117
	v_add_f16_e32 v63, v116, v63
	v_fma_f16 v48, v48, 2.0, -v114
	v_fma_f16 v53, v140, 2.0, -v115
	v_fma_f16 v128, v138, 2.0, -v116
	v_fma_f16 v50, v50, 2.0, -v60
	v_fma_f16 v121, v121, 2.0, -v118
	v_fma_f16 v56, v56, 2.0, -v64
	v_fma_f16 v115, v154, 2.0, -v119
	v_fma_f16 v66, v66, 2.0, -v71
	v_fma_f16 v132, v152, 2.0, -v120
	v_fma_f16 v69, v69, 2.0, -v73
	v_fma_f16 v133, v156, 2.0, -v122
	v_sub_f16_e32 v119, v60, v119
	v_sub_f16_e32 v122, v71, v122
	v_fma_f16 v51, v51, 2.0, -v61
	v_fma_f16 v57, v57, 2.0, -v65
	;; [unrolled: 1-line block ×4, first 2 shown]
	v_sub_f16_e32 v124, v61, v124
	v_sub_f16_e32 v126, v112, v126
	v_add_f16_e32 v64, v118, v64
	v_add_f16_e32 v73, v120, v73
	v_fma_f16 v129, v129, 2.0, -v123
	v_fma_f16 v78, v78, 2.0, -v112
	;; [unrolled: 1-line block ×4, first 2 shown]
	v_add_f16_e32 v65, v123, v65
	v_add_f16_e32 v113, v125, v113
	v_sub_f16_e32 v137, v127, v49
	v_fma_f16 v58, v58, 2.0, -v131
	v_fma_f16 v114, v114, 2.0, -v62
	v_sub_f16_e32 v55, v52, v55
	v_fma_f16 v59, v59, 2.0, -v117
	v_fma_f16 v138, v116, 2.0, -v63
	v_sub_f16_e32 v53, v48, v53
	v_sub_f16_e32 v130, v128, v130
	v_fmamk_f16 v139, v117, 0x39a8, v131
	v_fmamk_f16 v140, v63, 0x39a8, v62
	v_sub_f16_e32 v56, v50, v56
	v_sub_f16_e32 v141, v121, v115
	;; [unrolled: 1-line block ×4, first 2 shown]
	v_fmamk_f16 v133, v122, 0x39a8, v119
	v_sub_f16_e32 v57, v51, v57
	v_fma_f16 v61, v61, 2.0, -v124
	v_fma_f16 v112, v112, 2.0, -v126
	;; [unrolled: 1-line block ×6, first 2 shown]
	v_fmamk_f16 v143, v73, 0x39a8, v64
	v_sub_f16_e32 v120, v129, v134
	v_sub_f16_e32 v83, v78, v83
	;; [unrolled: 1-line block ×3, first 2 shown]
	v_fma_f16 v123, v123, 2.0, -v65
	v_fma_f16 v125, v125, 2.0, -v113
	v_fmamk_f16 v49, v126, 0x39a8, v124
	v_fma_f16 v127, v127, 2.0, -v137
	v_fma_f16 v52, v52, 2.0, -v55
	v_fmamk_f16 v144, v59, 0xb9a8, v58
	v_fmamk_f16 v145, v138, 0xb9a8, v114
	;; [unrolled: 1-line block ×3, first 2 shown]
	v_fma_f16 v136, v48, 2.0, -v53
	v_fma_f16 v128, v128, 2.0, -v130
	v_fmac_f16_e32 v139, 0xb9a8, v63
	v_fmac_f16_e32 v140, 0x39a8, v117
	v_fma_f16 v63, v50, 2.0, -v56
	v_fma_f16 v121, v121, 2.0, -v141
	;; [unrolled: 1-line block ×4, first 2 shown]
	v_fmac_f16_e32 v133, 0xb9a8, v73
	v_fma_f16 v73, v51, 2.0, -v57
	v_fmamk_f16 v51, v112, 0xb9a8, v61
	v_fmamk_f16 v132, v71, 0xb9a8, v60
	v_fmac_f16_e32 v143, 0x39a8, v122
	v_fma_f16 v122, v129, 2.0, -v120
	v_fma_f16 v78, v78, 2.0, -v83
	;; [unrolled: 1-line block ×3, first 2 shown]
	v_fmamk_f16 v146, v118, 0xb9a8, v142
	v_fmamk_f16 v117, v125, 0xb9a8, v123
	v_sub_f16_e32 v130, v137, v130
	v_add_f16_e32 v55, v53, v55
	v_sub_f16_e32 v147, v56, v116
	v_add_f16_e32 v116, v120, v83
	v_fmac_f16_e32 v49, 0xb9a8, v113
	v_sub_f16_e32 v83, v127, v52
	v_fmac_f16_e32 v144, 0xb9a8, v138
	v_fmac_f16_e32 v145, 0x39a8, v59
	v_sub_f16_e32 v48, v57, v134
	v_fmac_f16_e32 v115, 0x39a8, v126
	v_sub_f16_e32 v126, v136, v128
	v_fma_f16 v131, v131, 2.0, -v139
	v_fma_f16 v62, v62, 2.0, -v140
	v_sub_f16_e32 v134, v63, v50
	v_sub_f16_e32 v66, v121, v66
	v_fmac_f16_e32 v51, 0xb9a8, v125
	v_fmac_f16_e32 v132, 0xb9a8, v118
	v_sub_f16_e32 v50, v73, v78
	v_sub_f16_e32 v118, v122, v129
	v_add_f16_e32 v69, v141, v69
	v_fmac_f16_e32 v146, 0x39a8, v71
	v_fmac_f16_e32 v117, 0x39a8, v112
	v_fma_f16 v59, v137, 2.0, -v130
	v_fma_f16 v128, v53, 2.0, -v55
	;; [unrolled: 1-line block ×10, first 2 shown]
	v_pack_b32_f16 v61, v131, v62
	v_pack_b32_f16 v62, v83, v126
	v_fma_f16 v73, v73, 2.0, -v50
	v_fma_f16 v122, v122, 2.0, -v118
	;; [unrolled: 1-line block ×10, first 2 shown]
	v_add_nc_u32_e32 v44, 0x200, v70
	v_fma_f16 v64, v64, 2.0, -v143
	v_fma_f16 v120, v65, 2.0, -v115
	v_pack_b32_f16 v55, v130, v55
	v_pack_b32_f16 v57, v139, v140
	;; [unrolled: 1-line block ×6, first 2 shown]
	ds_write2_b32 v70, v61, v62 offset0:153 offset1:204
	v_pack_b32_f16 v61, v63, v121
	v_pack_b32_f16 v62, v73, v122
	v_add_nc_u32_e32 v67, 0x400, v111
	v_pack_b32_f16 v65, v147, v69
	v_pack_b32_f16 v69, v133, v143
	;; [unrolled: 1-line block ×10, first 2 shown]
	ds_write_b32 v70, v57 offset:1428
	v_pack_b32_f16 v57, v135, v64
	v_pack_b32_f16 v64, v134, v66
	;; [unrolled: 1-line block ×4, first 2 shown]
	ds_write2_b32 v44, v83, v55 offset0:127 offset1:178
	ds_write2_b32 v70, v58, v59 offset0:51 offset1:102
	ds_write2_b32 v70, v124, v61 offset1:17
	ds_write_b32 v70, v62 offset:136
	ds_write2_b32 v111, v60, v63 offset0:68 offset1:85
	ds_write2_b32 v111, v56, v71 offset0:119 offset1:136
	;; [unrolled: 1-line block ×7, first 2 shown]
	s_waitcnt lgkmcnt(0)
	s_barrier
	buffer_gl0_inv
	s_clause 0x10
	global_load_dword v67, v[21:22], off offset:1632
	global_load_dword v69, v54, s[0:1] offset:96
	global_load_dword v71, v54, s[0:1] offset:192
	;; [unrolled: 1-line block ×16, first 2 shown]
	ds_read2_b32 v[55:56], v70 offset1:24
	ds_read2_b32 v[57:58], v70 offset0:48 offset1:72
	ds_read2_b32 v[59:60], v70 offset0:96 offset1:120
	;; [unrolled: 1-line block ×7, first 2 shown]
	ds_read_b32 v135, v70 offset:1536
	s_waitcnt lgkmcnt(8)
	v_lshrrev_b32_e32 v136, 16, v55
	v_lshrrev_b32_e32 v137, 16, v56
	s_waitcnt lgkmcnt(7)
	v_lshrrev_b32_e32 v138, 16, v57
	v_lshrrev_b32_e32 v139, 16, v58
	;; [unrolled: 3-line block ×8, first 2 shown]
	s_waitcnt lgkmcnt(0)
	v_lshrrev_b32_e32 v152, 16, v135
	s_waitcnt vmcnt(16)
	v_mul_f16_sdwa v153, v136, v67 dst_sel:DWORD dst_unused:UNUSED_PAD src0_sel:DWORD src1_sel:WORD_1
	v_mul_f16_sdwa v154, v55, v67 dst_sel:DWORD dst_unused:UNUSED_PAD src0_sel:DWORD src1_sel:WORD_1
	s_waitcnt vmcnt(15)
	v_mul_f16_sdwa v155, v137, v69 dst_sel:DWORD dst_unused:UNUSED_PAD src0_sel:DWORD src1_sel:WORD_1
	v_mul_f16_sdwa v156, v56, v69 dst_sel:DWORD dst_unused:UNUSED_PAD src0_sel:DWORD src1_sel:WORD_1
	;; [unrolled: 3-line block ×17, first 2 shown]
	v_fma_f16 v55, v55, v67, -v153
	v_fmac_f16_e32 v154, v136, v67
	v_fma_f16 v56, v56, v69, -v155
	v_fmac_f16_e32 v156, v137, v69
	;; [unrolled: 2-line block ×17, first 2 shown]
	v_pack_b32_f16 v55, v55, v154
	v_pack_b32_f16 v56, v56, v156
	;; [unrolled: 1-line block ×17, first 2 shown]
	ds_write2_b32 v70, v55, v56 offset1:24
	ds_write2_b32 v70, v57, v58 offset0:48 offset1:72
	ds_write2_b32 v70, v59, v60 offset0:96 offset1:120
	;; [unrolled: 1-line block ×7, first 2 shown]
	ds_write_b32 v70, v78 offset:1536
	s_and_saveexec_b32 s2, vcc_lo
	s_cbranch_execz .LBB0_9
; %bb.8:
	v_add_co_u32 v54, s0, s0, v54
	v_add_co_ci_u32_e64 v55, null, s1, 0, s0
	s_clause 0x10
	global_load_dword v69, v[54:55], off offset:68
	global_load_dword v71, v[54:55], off offset:164
	;; [unrolled: 1-line block ×17, first 2 shown]
	ds_read2_b32 v[54:55], v70 offset0:17 offset1:41
	ds_read2_b32 v[56:57], v70 offset0:65 offset1:89
	;; [unrolled: 1-line block ×8, first 2 shown]
	ds_read_b32 v134, v70 offset:1604
	s_waitcnt lgkmcnt(8)
	v_lshrrev_b32_e32 v135, 16, v54
	v_lshrrev_b32_e32 v136, 16, v55
	s_waitcnt lgkmcnt(7)
	v_lshrrev_b32_e32 v137, 16, v56
	v_lshrrev_b32_e32 v138, 16, v57
	;; [unrolled: 3-line block ×8, first 2 shown]
	s_waitcnt lgkmcnt(0)
	v_lshrrev_b32_e32 v151, 16, v134
	s_waitcnt vmcnt(16)
	v_mul_f16_sdwa v152, v135, v69 dst_sel:DWORD dst_unused:UNUSED_PAD src0_sel:DWORD src1_sel:WORD_1
	v_mul_f16_sdwa v153, v54, v69 dst_sel:DWORD dst_unused:UNUSED_PAD src0_sel:DWORD src1_sel:WORD_1
	s_waitcnt vmcnt(15)
	v_mul_f16_sdwa v154, v136, v71 dst_sel:DWORD dst_unused:UNUSED_PAD src0_sel:DWORD src1_sel:WORD_1
	v_mul_f16_sdwa v155, v55, v71 dst_sel:DWORD dst_unused:UNUSED_PAD src0_sel:DWORD src1_sel:WORD_1
	;; [unrolled: 3-line block ×17, first 2 shown]
	v_fma_f16 v54, v54, v69, -v152
	v_fmac_f16_e32 v153, v135, v69
	v_fma_f16 v55, v55, v71, -v154
	v_fmac_f16_e32 v155, v136, v71
	;; [unrolled: 2-line block ×17, first 2 shown]
	v_pack_b32_f16 v54, v54, v153
	v_pack_b32_f16 v55, v55, v155
	;; [unrolled: 1-line block ×17, first 2 shown]
	ds_write2_b32 v70, v54, v55 offset0:17 offset1:41
	ds_write2_b32 v70, v56, v57 offset0:65 offset1:89
	;; [unrolled: 1-line block ×8, first 2 shown]
	ds_write_b32 v70, v73 offset:1604
.LBB0_9:
	s_or_b32 exec_lo, exec_lo, s2
	s_waitcnt lgkmcnt(0)
	s_barrier
	buffer_gl0_inv
	ds_read2_b32 v[54:55], v70 offset1:24
	ds_read2_b32 v[66:67], v70 offset0:48 offset1:72
	ds_read2_b32 v[62:63], v70 offset0:96 offset1:120
	;; [unrolled: 1-line block ×7, first 2 shown]
	ds_read_b32 v128, v70 offset:1536
	v_lshrrev_b32_e32 v44, 16, v103
	s_and_saveexec_b32 s0, vcc_lo
	s_cbranch_execz .LBB0_11
; %bb.10:
	v_lshl_add_u32 v24, v87, 2, v93
	ds_read_b32 v113, v70 offset:68
	ds_read2_b32 v[52:53], v24 offset0:41 offset1:65
	ds_read2_b32 v[50:51], v24 offset0:89 offset1:113
	v_add_nc_u32_e32 v25, 0x200, v24
	v_add_nc_u32_e32 v71, 0x400, v24
	ds_read2_b32 v[48:49], v24 offset0:137 offset1:161
	ds_read2_b32 v[46:47], v24 offset0:185 offset1:209
	;; [unrolled: 1-line block ×6, first 2 shown]
	s_waitcnt lgkmcnt(8)
	v_lshrrev_b32_e32 v114, 16, v113
	s_waitcnt lgkmcnt(7)
	v_lshrrev_b32_e32 v119, 16, v52
	v_lshrrev_b32_e32 v120, 16, v53
	s_waitcnt lgkmcnt(6)
	v_lshrrev_b32_e32 v118, 16, v50
	;; [unrolled: 3-line block ×8, first 2 shown]
	v_bfi_b32 v47, 0xffff, v47, v25
.LBB0_11:
	s_or_b32 exec_lo, exec_lo, s0
	s_waitcnt lgkmcnt(8)
	v_pk_add_f16 v71, v54, v55
	s_waitcnt lgkmcnt(0)
	v_pk_add_f16 v123, v128, v55
	v_pk_add_f16 v121, v55, v128 neg_lo:[0,1] neg_hi:[0,1]
	v_mov_b32_e32 v124, 0x3722
	v_mov_b32_e32 v138, 0xbbf7
	v_pk_add_f16 v71, v71, v66
	v_mov_b32_e32 v131, 0xba62
	v_mov_b32_e32 v130, 0xb8d2
	v_mul_f16_sdwa v129, v123, v124 dst_sel:DWORD dst_unused:UNUSED_PAD src0_sel:WORD_1 src1_sel:DWORD
	v_mul_f16_sdwa v132, v121, v138 dst_sel:DWORD dst_unused:UNUSED_PAD src0_sel:WORD_1 src1_sel:DWORD
	v_pk_add_f16 v55, v71, v67
	v_mul_f16_sdwa v136, v121, v131 dst_sel:DWORD dst_unused:UNUSED_PAD src0_sel:WORD_1 src1_sel:DWORD
	v_mov_b32_e32 v139, 0xb964
	v_fmamk_f16 v144, v121, 0x3b29, v129
	v_fmac_f16_e32 v129, 0xbb29, v121
	v_pk_add_f16 v55, v55, v62
	v_mul_f16_sdwa v140, v123, v130 dst_sel:DWORD dst_unused:UNUSED_PAD src0_sel:WORD_1 src1_sel:DWORD
	v_fmamk_f16 v145, v123, 0x2de8, v132
	v_fma_f16 v132, v123, 0x2de8, -v132
	v_add_f16_sdwa v152, v54, v129 dst_sel:DWORD dst_unused:UNUSED_PAD src0_sel:WORD_1 src1_sel:DWORD
	v_pk_add_f16 v55, v55, v63
	v_mov_b32_e32 v127, 0x39e9
	v_pk_mul_f16 v71, 0xb5c8, v121 op_sel_hi:[0,1]
	v_mul_f16_sdwa v73, v121, v139 dst_sel:DWORD dst_unused:UNUSED_PAD src0_sel:WORD_1 src1_sel:DWORD
	v_mov_b32_e32 v147, 0xbb29
	v_pk_add_f16 v55, v55, v58
	v_mov_b32_e32 v137, 0x2de8
	v_mul_f16_sdwa v78, v123, v127 dst_sel:DWORD dst_unused:UNUSED_PAD src0_sel:WORD_1 src1_sel:DWORD
	v_pk_fma_f16 v122, 0x3b76, v123, v71 op_sel:[0,0,1] op_sel_hi:[0,1,0] neg_lo:[0,0,1] neg_hi:[0,0,1]
	v_mul_f16_sdwa v83, v121, v147 dst_sel:DWORD dst_unused:UNUSED_PAD src0_sel:WORD_1 src1_sel:DWORD
	v_pk_add_f16 v55, v55, v59
	v_add_f16_sdwa v151, v54, v144 dst_sel:DWORD dst_unused:UNUSED_PAD src0_sel:WORD_1 src1_sel:DWORD
	v_fmamk_f16 v142, v121, 0x3964, v78
	v_fmac_f16_e32 v78, 0xb964, v121
	v_fmamk_f16 v143, v123, 0x3722, v83
	v_pk_add_f16 v141, v55, v56
	v_pk_fma_f16 v55, 0x3b76, v123, v71 op_sel:[0,0,1] op_sel_hi:[0,1,0]
	v_fmamk_f16 v71, v123, 0x39e9, v73
	v_fma_f16 v73, v123, 0x39e9, -v73
	v_add_f16_sdwa v142, v54, v142 dst_sel:DWORD dst_unused:UNUSED_PAD src0_sel:WORD_1 src1_sel:DWORD
	v_pk_add_f16 v141, v141, v57
	v_bfi_b32 v150, 0xffff, v55, v122
	v_add_f16_e32 v71, v54, v71
	v_add_f16_e32 v73, v54, v73
	v_add_f16_sdwa v78, v54, v78 dst_sel:DWORD dst_unused:UNUSED_PAD src0_sel:WORD_1 src1_sel:DWORD
	v_pk_add_f16 v141, v141, v60
	v_pk_add_f16 v144, v54, v150
	v_mul_f16_sdwa v133, v123, v137 dst_sel:DWORD dst_unused:UNUSED_PAD src0_sel:WORD_1 src1_sel:DWORD
	v_fma_f16 v83, v123, 0x3722, -v83
	v_add_f16_e32 v143, v54, v143
	v_pk_add_f16 v141, v141, v61
	v_mov_b32_e32 v125, 0xbbb2
	v_mov_b32_e32 v126, 0xb461
	v_fmamk_f16 v146, v121, 0x3bf7, v133
	v_fmac_f16_e32 v133, 0xbbf7, v121
	v_pk_add_f16 v141, v141, v64
	v_add_f16_e32 v83, v54, v83
	v_mul_f16_sdwa v134, v121, v125 dst_sel:DWORD dst_unused:UNUSED_PAD src0_sel:WORD_1 src1_sel:DWORD
	v_mul_f16_sdwa v135, v123, v126 dst_sel:DWORD dst_unused:UNUSED_PAD src0_sel:WORD_1 src1_sel:DWORD
	v_add_f16_e32 v145, v54, v145
	v_pk_add_f16 v141, v141, v65
	v_add_f16_sdwa v146, v54, v146 dst_sel:DWORD dst_unused:UNUSED_PAD src0_sel:WORD_1 src1_sel:DWORD
	v_add_f16_sdwa v153, v54, v133 dst_sel:DWORD dst_unused:UNUSED_PAD src0_sel:WORD_1 src1_sel:DWORD
	v_mov_b32_e32 v133, 0xbacd
	v_fmamk_f16 v148, v123, 0xb461, v134
	v_pk_add_f16 v141, v141, v68
	v_fmamk_f16 v149, v121, 0x3bb2, v135
	v_fma_f16 v134, v123, 0xb461, -v134
	v_fmac_f16_e32 v135, 0xbbb2, v121
	v_add_f16_e32 v148, v54, v148
	v_pk_add_f16 v129, v141, v69
	v_add_f16_e32 v141, v54, v132
	v_fmamk_f16 v132, v121, 0x3a62, v140
	v_fmac_f16_e32 v140, 0xba62, v121
	v_add_f16_sdwa v149, v54, v149 dst_sel:DWORD dst_unused:UNUSED_PAD src0_sel:WORD_1 src1_sel:DWORD
	v_pk_add_f16 v128, v129, v128
	v_fmamk_f16 v129, v123, 0xb8d2, v136
	v_add_f16_sdwa v155, v54, v132 dst_sel:DWORD dst_unused:UNUSED_PAD src0_sel:WORD_1 src1_sel:DWORD
	v_pk_add_f16 v132, v69, v66
	v_add_f16_sdwa v160, v54, v140 dst_sel:DWORD dst_unused:UNUSED_PAD src0_sel:WORD_1 src1_sel:DWORD
	v_add_f16_e32 v150, v54, v134
	v_add_f16_e32 v154, v54, v129
	v_pk_add_f16 v129, v66, v69 neg_lo:[0,1] neg_hi:[0,1]
	v_mul_f16_sdwa v161, v132, v137 dst_sel:DWORD dst_unused:UNUSED_PAD src0_sel:WORD_1 src1_sel:DWORD
	v_mul_f16_sdwa v165, v132, v130 dst_sel:DWORD dst_unused:UNUSED_PAD src0_sel:WORD_1 src1_sel:DWORD
	v_mov_b32_e32 v134, 0xb836
	v_add_f16_sdwa v135, v54, v135 dst_sel:DWORD dst_unused:UNUSED_PAD src0_sel:WORD_1 src1_sel:DWORD
	v_pk_mul_f16 v69, 0xb964, v129 op_sel_hi:[0,1]
	v_mul_f16_sdwa v140, v129, v138 dst_sel:DWORD dst_unused:UNUSED_PAD src0_sel:WORD_1 src1_sel:DWORD
	v_fmamk_f16 v164, v129, 0x3bf7, v161
	v_fmac_f16_e32 v161, 0xbbf7, v129
	v_mul_f16_sdwa v156, v121, v134 dst_sel:DWORD dst_unused:UNUSED_PAD src0_sel:WORD_1 src1_sel:DWORD
	v_pk_fma_f16 v66, 0x39e9, v132, v69 op_sel:[0,0,1] op_sel_hi:[0,1,0]
	v_pk_fma_f16 v69, 0x39e9, v132, v69 op_sel:[0,0,1] op_sel_hi:[0,1,0] neg_lo:[0,0,1] neg_hi:[0,0,1]
	v_fmamk_f16 v163, v132, 0x2de8, v140
	v_fma_f16 v140, v132, 0x2de8, -v140
	v_add_f16_e32 v164, v164, v142
	v_mov_b32_e32 v142, 0xb1e1
	v_bfi_b32 v162, 0xffff, v66, v69
	v_add_f16_e32 v71, v163, v71
	v_mul_f16_sdwa v163, v129, v131 dst_sel:DWORD dst_unused:UNUSED_PAD src0_sel:WORD_1 src1_sel:DWORD
	v_add_f16_e32 v73, v140, v73
	v_add_f16_e32 v78, v161, v78
	v_pk_add_f16 v162, v162, v144
	v_fmamk_f16 v161, v129, 0x3a62, v165
	v_fmamk_f16 v140, v132, 0xb8d2, v163
	v_mov_b32_e32 v144, 0xbbdd
	v_fma_f16 v163, v132, 0xb8d2, -v163
	v_fmac_f16_e32 v165, 0xba62, v129
	v_add_f16_e32 v151, v161, v151
	v_add_f16_e32 v143, v140, v143
	v_mul_f16_sdwa v140, v129, v142 dst_sel:DWORD dst_unused:UNUSED_PAD src0_sel:WORD_1 src1_sel:DWORD
	v_mul_f16_sdwa v161, v132, v144 dst_sel:DWORD dst_unused:UNUSED_PAD src0_sel:WORD_1 src1_sel:DWORD
	v_add_f16_e32 v83, v163, v83
	v_mov_b32_e32 v163, 0x3836
	v_add_f16_e32 v152, v165, v152
	v_fmamk_f16 v166, v132, 0xbbdd, v140
	v_fmamk_f16 v167, v129, 0x31e1, v161
	v_fma_f16 v140, v132, 0xbbdd, -v140
	v_fmac_f16_e32 v161, 0xb1e1, v129
	v_fma_f16 v136, v123, 0xb8d2, -v136
	v_add_f16_e32 v165, v166, v145
	v_mul_f16_sdwa v145, v129, v163 dst_sel:DWORD dst_unused:UNUSED_PAD src0_sel:WORD_1 src1_sel:DWORD
	v_add_f16_e32 v146, v167, v146
	v_mul_f16_sdwa v166, v132, v133 dst_sel:DWORD dst_unused:UNUSED_PAD src0_sel:WORD_1 src1_sel:DWORD
	v_mov_b32_e32 v167, 0x3bb2
	v_add_f16_e32 v141, v140, v141
	v_fmamk_f16 v140, v132, 0xbacd, v145
	v_add_f16_e32 v153, v161, v153
	v_fmamk_f16 v168, v129, 0xb836, v166
	v_fma_f16 v145, v132, 0xbacd, -v145
	v_mul_f16_sdwa v161, v129, v167 dst_sel:DWORD dst_unused:UNUSED_PAD src0_sel:WORD_1 src1_sel:DWORD
	v_add_f16_e32 v148, v140, v148
	v_fmac_f16_e32 v166, 0x3836, v129
	v_add_f16_e32 v168, v168, v149
	v_mul_f16_sdwa v149, v132, v126 dst_sel:DWORD dst_unused:UNUSED_PAD src0_sel:WORD_1 src1_sel:DWORD
	v_add_f16_e32 v150, v145, v150
	v_fmamk_f16 v145, v132, 0xb461, v161
	v_mov_b32_e32 v140, 0x3b29
	v_mul_f16_sdwa v157, v123, v133 dst_sel:DWORD dst_unused:UNUSED_PAD src0_sel:WORD_1 src1_sel:DWORD
	v_fmamk_f16 v158, v123, 0xbacd, v156
	v_add_f16_e32 v136, v54, v136
	v_fmamk_f16 v169, v129, 0xbbb2, v149
	v_fma_f16 v161, v132, 0xb461, -v161
	v_add_f16_e32 v166, v166, v135
	v_add_f16_e32 v154, v145, v154
	v_mul_f16_sdwa v145, v129, v140 dst_sel:DWORD dst_unused:UNUSED_PAD src0_sel:WORD_1 src1_sel:DWORD
	v_pk_add_f16 v135, v67, v68 neg_lo:[0,1] neg_hi:[0,1]
	v_fmamk_f16 v159, v121, 0x3836, v157
	v_add_f16_e32 v158, v54, v158
	v_fma_f16 v156, v123, 0xbacd, -v156
	v_add_f16_e32 v155, v169, v155
	v_add_f16_e32 v161, v161, v136
	v_fmac_f16_e32 v149, 0x3bb2, v129
	v_fmamk_f16 v169, v132, 0x3722, v145
	v_mul_f16_sdwa v170, v132, v124 dst_sel:DWORD dst_unused:UNUSED_PAD src0_sel:WORD_1 src1_sel:DWORD
	v_pk_add_f16 v136, v68, v67
	v_pk_mul_f16 v68, 0xbb29, v135 op_sel_hi:[0,1]
	v_add_f16_sdwa v159, v54, v159 dst_sel:DWORD dst_unused:UNUSED_PAD src0_sel:WORD_1 src1_sel:DWORD
	v_add_f16_e32 v156, v54, v156
	v_add_f16_e32 v160, v149, v160
	;; [unrolled: 1-line block ×3, first 2 shown]
	v_fmamk_f16 v149, v129, 0xbb29, v170
	v_fma_f16 v145, v132, 0x3722, -v145
	v_pk_fma_f16 v67, 0x3722, v136, v68 op_sel:[0,0,1] op_sel_hi:[0,1,0]
	v_pk_fma_f16 v68, 0x3722, v136, v68 op_sel:[0,0,1] op_sel_hi:[0,1,0] neg_lo:[0,0,1] neg_hi:[0,0,1]
	v_mul_f16_sdwa v169, v135, v131 dst_sel:DWORD dst_unused:UNUSED_PAD src0_sel:WORD_1 src1_sel:DWORD
	v_fmac_f16_e32 v157, 0xb836, v121
	v_add_f16_e32 v159, v149, v159
	v_add_f16_e32 v156, v145, v156
	v_bfi_b32 v145, 0xffff, v67, v68
	v_fmamk_f16 v149, v136, 0xb8d2, v169
	v_mul_f16_sdwa v171, v136, v130 dst_sel:DWORD dst_unused:UNUSED_PAD src0_sel:WORD_1 src1_sel:DWORD
	v_mov_b32_e32 v172, 0x31e1
	v_add_f16_sdwa v157, v54, v157 dst_sel:DWORD dst_unused:UNUSED_PAD src0_sel:WORD_1 src1_sel:DWORD
	v_fmac_f16_e32 v170, 0x3b29, v129
	v_pk_add_f16 v162, v145, v162
	v_add_f16_e32 v71, v149, v71
	v_fmamk_f16 v145, v135, 0x3a62, v171
	v_mul_f16_sdwa v149, v135, v172 dst_sel:DWORD dst_unused:UNUSED_PAD src0_sel:WORD_1 src1_sel:DWORD
	v_add_f16_e32 v157, v170, v157
	v_mul_f16_sdwa v170, v136, v144 dst_sel:DWORD dst_unused:UNUSED_PAD src0_sel:WORD_1 src1_sel:DWORD
	v_fma_f16 v169, v136, 0xb8d2, -v169
	v_fmac_f16_e32 v171, 0xba62, v135
	v_add_f16_e32 v164, v145, v164
	v_fmamk_f16 v145, v136, 0xbbdd, v149
	v_fmamk_f16 v172, v135, 0xb1e1, v170
	v_add_f16_e32 v73, v169, v73
	v_add_f16_e32 v78, v171, v78
	v_fma_f16 v149, v136, 0xbbdd, -v149
	v_add_f16_e32 v169, v145, v143
	v_mul_f16_sdwa v143, v135, v167 dst_sel:DWORD dst_unused:UNUSED_PAD src0_sel:WORD_1 src1_sel:DWORD
	v_mul_f16_sdwa v171, v136, v126 dst_sel:DWORD dst_unused:UNUSED_PAD src0_sel:WORD_1 src1_sel:DWORD
	v_fmac_f16_e32 v170, 0x31e1, v135
	v_mov_b32_e32 v145, 0x3964
	v_add_f16_e32 v151, v172, v151
	v_add_f16_e32 v83, v149, v83
	v_fmamk_f16 v149, v136, 0xb461, v143
	v_fmamk_f16 v172, v135, 0xbbb2, v171
	v_fma_f16 v143, v136, 0xb461, -v143
	v_add_f16_e32 v152, v170, v152
	v_mul_f16_sdwa v170, v135, v145 dst_sel:DWORD dst_unused:UNUSED_PAD src0_sel:WORD_1 src1_sel:DWORD
	v_mov_b32_e32 v173, 0xb5c8
	v_add_f16_e32 v146, v172, v146
	v_add_f16_e32 v172, v143, v141
	v_add_f16_e32 v165, v149, v165
	v_fmamk_f16 v141, v136, 0x39e9, v170
	v_fmac_f16_e32 v171, 0x3bb2, v135
	v_mov_b32_e32 v149, 0x3b76
	v_mul_f16_sdwa v143, v136, v127 dst_sel:DWORD dst_unused:UNUSED_PAD src0_sel:WORD_1 src1_sel:DWORD
	v_fma_f16 v170, v136, 0x39e9, -v170
	v_add_f16_e32 v148, v141, v148
	v_mul_f16_sdwa v141, v135, v173 dst_sel:DWORD dst_unused:UNUSED_PAD src0_sel:WORD_1 src1_sel:DWORD
	v_add_f16_e32 v153, v171, v153
	v_mul_f16_sdwa v171, v136, v149 dst_sel:DWORD dst_unused:UNUSED_PAD src0_sel:WORD_1 src1_sel:DWORD
	v_fmamk_f16 v174, v135, 0xb964, v143
	v_fmac_f16_e32 v143, 0x3964, v135
	v_fmamk_f16 v175, v136, 0x3b76, v141
	v_add_f16_e32 v150, v170, v150
	v_fmamk_f16 v176, v135, 0x35c8, v171
	v_mul_f16_sdwa v170, v135, v138 dst_sel:DWORD dst_unused:UNUSED_PAD src0_sel:WORD_1 src1_sel:DWORD
	v_add_f16_e32 v166, v143, v166
	v_add_f16_e32 v154, v175, v154
	v_fma_f16 v175, v136, 0x3b76, -v141
	v_pk_add_f16 v141, v62, v65 neg_lo:[0,1] neg_hi:[0,1]
	v_pk_add_f16 v143, v65, v62
	v_add_f16_e32 v168, v174, v168
	v_add_f16_e32 v155, v176, v155
	v_mul_f16_sdwa v174, v136, v137 dst_sel:DWORD dst_unused:UNUSED_PAD src0_sel:WORD_1 src1_sel:DWORD
	v_pk_mul_f16 v65, 0xbbf7, v141 op_sel_hi:[0,1]
	v_fmac_f16_e32 v171, 0xb5c8, v135
	v_fmamk_f16 v176, v136, 0x2de8, v170
	v_add_f16_e32 v161, v175, v161
	v_fmamk_f16 v177, v135, 0x3bf7, v174
	v_pk_fma_f16 v62, 0x2de8, v143, v65 op_sel:[0,0,1] op_sel_hi:[0,1,0]
	v_pk_fma_f16 v65, 0x2de8, v143, v65 op_sel:[0,0,1] op_sel_hi:[0,1,0] neg_lo:[0,0,1] neg_hi:[0,0,1]
	v_add_f16_e32 v160, v171, v160
	v_add_f16_e32 v158, v176, v158
	v_mul_f16_sdwa v171, v141, v142 dst_sel:DWORD dst_unused:UNUSED_PAD src0_sel:WORD_1 src1_sel:DWORD
	v_mul_f16_sdwa v175, v143, v144 dst_sel:DWORD dst_unused:UNUSED_PAD src0_sel:WORD_1 src1_sel:DWORD
	v_fma_f16 v170, v136, 0x2de8, -v170
	v_fmac_f16_e32 v174, 0xbbf7, v135
	v_bfi_b32 v176, 0xffff, v62, v65
	v_add_f16_e32 v159, v177, v159
	v_fmamk_f16 v177, v143, 0xbbdd, v171
	v_fmamk_f16 v178, v141, 0x31e1, v175
	v_add_f16_e32 v156, v170, v156
	v_add_f16_e32 v157, v174, v157
	v_pk_add_f16 v162, v176, v162
	v_mul_f16_sdwa v170, v141, v167 dst_sel:DWORD dst_unused:UNUSED_PAD src0_sel:WORD_1 src1_sel:DWORD
	v_fma_f16 v171, v143, 0xbbdd, -v171
	v_fmac_f16_e32 v175, 0xb1e1, v141
	v_mov_b32_e32 v174, 0x35c8
	v_mul_f16_sdwa v176, v143, v126 dst_sel:DWORD dst_unused:UNUSED_PAD src0_sel:WORD_1 src1_sel:DWORD
	v_add_f16_e32 v71, v177, v71
	v_fmamk_f16 v177, v143, 0xb461, v170
	v_add_f16_e32 v73, v171, v73
	v_add_f16_e32 v78, v175, v78
	v_mul_f16_sdwa v171, v141, v174 dst_sel:DWORD dst_unused:UNUSED_PAD src0_sel:WORD_1 src1_sel:DWORD
	v_fmamk_f16 v175, v141, 0xbbb2, v176
	v_add_f16_e32 v169, v177, v169
	v_fmac_f16_e32 v176, 0x3bb2, v141
	v_fma_f16 v170, v143, 0xb461, -v170
	v_fmamk_f16 v177, v143, 0x3b76, v171
	v_add_f16_e32 v151, v175, v151
	v_mul_f16_sdwa v175, v143, v149 dst_sel:DWORD dst_unused:UNUSED_PAD src0_sel:WORD_1 src1_sel:DWORD
	v_add_f16_e32 v152, v176, v152
	v_add_f16_e32 v83, v170, v83
	;; [unrolled: 1-line block ×3, first 2 shown]
	v_mul_f16_sdwa v177, v143, v124 dst_sel:DWORD dst_unused:UNUSED_PAD src0_sel:WORD_1 src1_sel:DWORD
	v_fmamk_f16 v176, v141, 0xb5c8, v175
	v_mul_f16_sdwa v170, v141, v147 dst_sel:DWORD dst_unused:UNUSED_PAD src0_sel:WORD_1 src1_sel:DWORD
	v_add_f16_e32 v164, v178, v164
	v_fma_f16 v171, v143, 0x3b76, -v171
	v_fmac_f16_e32 v175, 0x35c8, v141
	v_add_f16_e32 v176, v176, v146
	v_fmamk_f16 v146, v141, 0x3b29, v177
	v_fmamk_f16 v178, v143, 0x3722, v170
	v_add_f16_e32 v171, v171, v172
	v_add_f16_e32 v153, v175, v153
	v_mul_f16_sdwa v175, v143, v133 dst_sel:DWORD dst_unused:UNUSED_PAD src0_sel:WORD_1 src1_sel:DWORD
	v_add_f16_e32 v168, v146, v168
	v_fma_f16 v146, v143, 0x3722, -v170
	v_add_f16_e32 v172, v178, v148
	v_mul_f16_sdwa v148, v141, v134 dst_sel:DWORD dst_unused:UNUSED_PAD src0_sel:WORD_1 src1_sel:DWORD
	v_fmac_f16_e32 v177, 0xbb29, v141
	v_mov_b32_e32 v178, 0x3a62
	v_add_f16_e32 v150, v146, v150
	v_pk_add_f16 v146, v63, v64 neg_lo:[0,1] neg_hi:[0,1]
	v_fmamk_f16 v170, v143, 0xbacd, v148
	v_fmamk_f16 v179, v141, 0x3836, v175
	v_add_f16_e32 v166, v177, v166
	v_fma_f16 v177, v143, 0xbacd, -v148
	v_fmac_f16_e32 v175, 0xb836, v141
	v_mul_f16_sdwa v180, v143, v130 dst_sel:DWORD dst_unused:UNUSED_PAD src0_sel:WORD_1 src1_sel:DWORD
	v_pk_add_f16 v148, v64, v63
	v_pk_mul_f16 v64, 0xbbb2, v146 op_sel_hi:[0,1]
	v_add_f16_e32 v154, v170, v154
	v_mul_f16_sdwa v170, v141, v178 dst_sel:DWORD dst_unused:UNUSED_PAD src0_sel:WORD_1 src1_sel:DWORD
	v_add_f16_e32 v160, v175, v160
	v_fmamk_f16 v175, v141, 0xba62, v180
	v_pk_fma_f16 v63, 0xb461, v148, v64 op_sel:[0,0,1] op_sel_hi:[0,1,0]
	v_pk_fma_f16 v64, 0xb461, v148, v64 op_sel:[0,0,1] op_sel_hi:[0,1,0] neg_lo:[0,0,1] neg_hi:[0,0,1]
	v_add_f16_e32 v155, v179, v155
	v_fmamk_f16 v179, v143, 0xb8d2, v170
	v_fma_f16 v170, v143, 0xb8d2, -v170
	v_mul_f16_sdwa v163, v146, v163 dst_sel:DWORD dst_unused:UNUSED_PAD src0_sel:WORD_1 src1_sel:DWORD
	v_add_f16_e32 v159, v175, v159
	v_bfi_b32 v175, 0xffff, v63, v64
	v_add_f16_e32 v161, v177, v161
	v_fmac_f16_e32 v180, 0x3a62, v141
	v_add_f16_e32 v156, v170, v156
	v_fmamk_f16 v170, v148, 0xbacd, v163
	v_mul_f16_sdwa v177, v148, v133 dst_sel:DWORD dst_unused:UNUSED_PAD src0_sel:WORD_1 src1_sel:DWORD
	v_pk_add_f16 v162, v175, v162
	v_mul_f16_sdwa v175, v146, v145 dst_sel:DWORD dst_unused:UNUSED_PAD src0_sel:WORD_1 src1_sel:DWORD
	v_add_f16_e32 v158, v179, v158
	v_add_f16_e32 v157, v180, v157
	;; [unrolled: 1-line block ×3, first 2 shown]
	v_fmamk_f16 v170, v146, 0xb836, v177
	v_fma_f16 v163, v148, 0xbacd, -v163
	v_fmamk_f16 v179, v148, 0x39e9, v175
	v_mul_f16_sdwa v180, v148, v127 dst_sel:DWORD dst_unused:UNUSED_PAD src0_sel:WORD_1 src1_sel:DWORD
	v_fmac_f16_e32 v177, 0x3836, v146
	v_add_f16_e32 v164, v170, v164
	v_add_f16_e32 v73, v163, v73
	;; [unrolled: 1-line block ×3, first 2 shown]
	v_fmamk_f16 v169, v146, 0xb964, v180
	v_mul_f16_sdwa v147, v146, v147 dst_sel:DWORD dst_unused:UNUSED_PAD src0_sel:WORD_1 src1_sel:DWORD
	v_mul_f16_sdwa v170, v148, v124 dst_sel:DWORD dst_unused:UNUSED_PAD src0_sel:WORD_1 src1_sel:DWORD
	v_fma_f16 v175, v148, 0x39e9, -v175
	v_add_f16_e32 v78, v177, v78
	v_add_f16_e32 v151, v169, v151
	v_fmamk_f16 v169, v148, 0x3722, v147
	v_fmamk_f16 v177, v146, 0x3b29, v170
	v_add_f16_e32 v83, v175, v83
	v_mul_f16_sdwa v175, v146, v142 dst_sel:DWORD dst_unused:UNUSED_PAD src0_sel:WORD_1 src1_sel:DWORD
	v_fmac_f16_e32 v170, 0xbb29, v146
	v_add_f16_e32 v165, v169, v165
	v_add_f16_e32 v169, v177, v176
	v_mul_f16_sdwa v179, v148, v144 dst_sel:DWORD dst_unused:UNUSED_PAD src0_sel:WORD_1 src1_sel:DWORD
	v_fmamk_f16 v176, v148, 0xbbdd, v175
	v_fma_f16 v147, v148, 0x3722, -v147
	v_mov_b32_e32 v177, 0x3bf7
	v_add_f16_e32 v153, v170, v153
	v_fmac_f16_e32 v180, 0x3964, v146
	v_add_f16_e32 v170, v176, v172
	v_fmamk_f16 v172, v146, 0x31e1, v179
	v_mul_f16_sdwa v176, v148, v137 dst_sel:DWORD dst_unused:UNUSED_PAD src0_sel:WORD_1 src1_sel:DWORD
	v_add_f16_e32 v147, v147, v171
	v_mul_f16_sdwa v171, v146, v177 dst_sel:DWORD dst_unused:UNUSED_PAD src0_sel:WORD_1 src1_sel:DWORD
	v_add_f16_e32 v152, v180, v152
	v_add_f16_e32 v168, v172, v168
	v_fmamk_f16 v172, v146, 0xbbf7, v176
	v_fma_f16 v175, v148, 0xbbdd, -v175
	v_fmamk_f16 v180, v148, 0x2de8, v171
	v_fmac_f16_e32 v179, 0xb1e1, v146
	v_fma_f16 v171, v148, 0x2de8, -v171
	v_add_f16_e32 v155, v172, v155
	v_pk_add_f16 v172, v58, v61 neg_lo:[0,1] neg_hi:[0,1]
	v_add_f16_e32 v150, v175, v150
	v_add_f16_e32 v154, v180, v154
	v_mul_f16_sdwa v175, v146, v173 dst_sel:DWORD dst_unused:UNUSED_PAD src0_sel:WORD_1 src1_sel:DWORD
	v_fmac_f16_e32 v176, 0x3bf7, v146
	v_mul_f16_sdwa v180, v148, v149 dst_sel:DWORD dst_unused:UNUSED_PAD src0_sel:WORD_1 src1_sel:DWORD
	v_pk_add_f16 v58, v61, v58
	v_pk_mul_f16 v61, 0xba62, v172 op_sel_hi:[0,1]
	v_add_f16_e32 v166, v179, v166
	v_fmamk_f16 v179, v148, 0x3b76, v175
	v_add_f16_e32 v161, v171, v161
	v_add_f16_e32 v160, v176, v160
	v_fmamk_f16 v171, v146, 0x35c8, v180
	v_pk_fma_f16 v176, 0xb8d2, v58, v61 op_sel:[0,0,1] op_sel_hi:[0,1,0]
	v_pk_fma_f16 v61, 0xb8d2, v58, v61 op_sel:[0,0,1] op_sel_hi:[0,1,0] neg_lo:[0,0,1] neg_hi:[0,0,1]
	v_mul_f16_sdwa v167, v172, v167 dst_sel:DWORD dst_unused:UNUSED_PAD src0_sel:WORD_1 src1_sel:DWORD
	v_fma_f16 v175, v148, 0x3b76, -v175
	v_fmac_f16_e32 v180, 0xb5c8, v146
	v_add_f16_e32 v158, v179, v158
	v_add_f16_e32 v159, v171, v159
	v_bfi_b32 v171, 0xffff, v176, v61
	v_fmamk_f16 v179, v58, 0xb461, v167
	v_add_f16_e32 v156, v175, v156
	v_mul_f16_sdwa v175, v58, v126 dst_sel:DWORD dst_unused:UNUSED_PAD src0_sel:WORD_1 src1_sel:DWORD
	v_add_f16_e32 v157, v180, v157
	v_fma_f16 v167, v58, 0xb461, -v167
	v_mul_f16_sdwa v180, v58, v149 dst_sel:DWORD dst_unused:UNUSED_PAD src0_sel:WORD_1 src1_sel:DWORD
	v_pk_add_f16 v162, v171, v162
	v_add_f16_e32 v71, v179, v71
	v_mul_f16_sdwa v171, v172, v173 dst_sel:DWORD dst_unused:UNUSED_PAD src0_sel:WORD_1 src1_sel:DWORD
	v_fmamk_f16 v179, v172, 0xbbb2, v175
	v_fmac_f16_e32 v175, 0x3bb2, v172
	v_add_f16_e32 v73, v167, v73
	v_fmamk_f16 v167, v172, 0x35c8, v180
	v_fmamk_f16 v181, v58, 0x3b76, v171
	v_fma_f16 v171, v58, 0x3b76, -v171
	v_add_f16_e32 v78, v175, v78
	v_mul_f16_sdwa v175, v172, v134 dst_sel:DWORD dst_unused:UNUSED_PAD src0_sel:WORD_1 src1_sel:DWORD
	v_add_f16_e32 v151, v167, v151
	v_mul_f16_sdwa v167, v58, v133 dst_sel:DWORD dst_unused:UNUSED_PAD src0_sel:WORD_1 src1_sel:DWORD
	v_add_f16_e32 v164, v179, v164
	v_add_f16_e32 v83, v171, v83
	v_fmamk_f16 v179, v58, 0xbacd, v175
	v_mul_f16_sdwa v171, v172, v177 dst_sel:DWORD dst_unused:UNUSED_PAD src0_sel:WORD_1 src1_sel:DWORD
	v_fmamk_f16 v177, v172, 0x3836, v167
	v_fma_f16 v175, v58, 0xbacd, -v175
	v_fmac_f16_e32 v167, 0xb836, v172
	v_add_f16_e32 v165, v179, v165
	v_fmamk_f16 v179, v58, 0x2de8, v171
	v_add_f16_e32 v169, v177, v169
	v_mul_f16_sdwa v177, v58, v137 dst_sel:DWORD dst_unused:UNUSED_PAD src0_sel:WORD_1 src1_sel:DWORD
	v_add_f16_e32 v147, v175, v147
	v_add_f16_e32 v153, v167, v153
	;; [unrolled: 1-line block ×3, first 2 shown]
	v_mul_f16_sdwa v175, v58, v127 dst_sel:DWORD dst_unused:UNUSED_PAD src0_sel:WORD_1 src1_sel:DWORD
	v_fmamk_f16 v170, v172, 0xbbf7, v177
	v_mul_f16_sdwa v139, v172, v139 dst_sel:DWORD dst_unused:UNUSED_PAD src0_sel:WORD_1 src1_sel:DWORD
	v_fma_f16 v171, v58, 0x2de8, -v171
	v_fmac_f16_e32 v177, 0x3bf7, v172
	v_fmac_f16_e32 v180, 0xb5c8, v172
	v_add_f16_e32 v168, v170, v168
	v_fmamk_f16 v170, v172, 0x3964, v175
	v_fmamk_f16 v179, v58, 0x39e9, v139
	v_add_f16_e32 v150, v171, v150
	v_mul_f16_sdwa v171, v172, v142 dst_sel:DWORD dst_unused:UNUSED_PAD src0_sel:WORD_1 src1_sel:DWORD
	v_fma_f16 v139, v58, 0x39e9, -v139
	v_add_f16_e32 v155, v170, v155
	v_pk_add_f16 v170, v59, v60 neg_lo:[0,1] neg_hi:[0,1]
	v_add_f16_e32 v154, v179, v154
	v_fmac_f16_e32 v175, 0xb964, v172
	v_mul_f16_sdwa v179, v58, v144 dst_sel:DWORD dst_unused:UNUSED_PAD src0_sel:WORD_1 src1_sel:DWORD
	v_pk_add_f16 v59, v60, v59
	v_pk_mul_f16 v60, 0xb836, v170 op_sel_hi:[0,1]
	v_add_f16_e32 v166, v177, v166
	v_fmamk_f16 v177, v58, 0xbbdd, v171
	v_add_f16_e32 v139, v139, v161
	v_add_f16_e32 v160, v175, v160
	v_fmamk_f16 v161, v172, 0x31e1, v179
	v_pk_fma_f16 v175, 0xbacd, v59, v60 op_sel:[0,0,1] op_sel_hi:[0,1,0]
	v_pk_fma_f16 v60, 0xbacd, v59, v60 op_sel:[0,0,1] op_sel_hi:[0,1,0] neg_lo:[0,0,1] neg_hi:[0,0,1]
	v_fma_f16 v171, v58, 0xbbdd, -v171
	v_mul_f16_sdwa v137, v59, v137 dst_sel:DWORD dst_unused:UNUSED_PAD src0_sel:WORD_1 src1_sel:DWORD
	v_add_f16_e32 v159, v161, v159
	v_fmac_f16_e32 v179, 0xb1e1, v172
	v_bfi_b32 v161, 0xffff, v175, v60
	v_add_f16_e32 v156, v171, v156
	v_mul_f16_sdwa v171, v59, v124 dst_sel:DWORD dst_unused:UNUSED_PAD src0_sel:WORD_1 src1_sel:DWORD
	v_mul_f16_sdwa v138, v170, v138 dst_sel:DWORD dst_unused:UNUSED_PAD src0_sel:WORD_1 src1_sel:DWORD
	v_add_f16_e32 v152, v180, v152
	v_pk_add_f16 v161, v161, v162
	v_add_f16_e32 v157, v179, v157
	v_fmamk_f16 v162, v170, 0xbb29, v171
	v_fmamk_f16 v179, v59, 0x2de8, v138
	v_fma_f16 v138, v59, 0x2de8, -v138
	v_add_f16_e32 v158, v177, v158
	v_mul_f16_sdwa v177, v170, v140 dst_sel:DWORD dst_unused:UNUSED_PAD src0_sel:WORD_1 src1_sel:DWORD
	v_add_f16_e32 v162, v162, v164
	v_fmamk_f16 v164, v170, 0x3bf7, v137
	v_fmac_f16_e32 v137, 0xbbf7, v170
	v_add_f16_e32 v83, v138, v83
	v_mul_f16_sdwa v138, v170, v173 dst_sel:DWORD dst_unused:UNUSED_PAD src0_sel:WORD_1 src1_sel:DWORD
	v_fmac_f16_e32 v171, 0x3b29, v170
	v_add_f16_e32 v151, v164, v151
	v_mul_f16_sdwa v164, v59, v130 dst_sel:DWORD dst_unused:UNUSED_PAD src0_sel:WORD_1 src1_sel:DWORD
	v_add_f16_e32 v137, v137, v152
	v_fmamk_f16 v173, v59, 0x3b76, v138
	v_fmamk_f16 v180, v59, 0x3722, v177
	v_fma_f16 v177, v59, 0x3722, -v177
	v_fmamk_f16 v152, v170, 0xba62, v164
	v_fmac_f16_e32 v164, 0x3a62, v170
	v_add_f16_e32 v78, v171, v78
	v_mul_f16_sdwa v171, v170, v178 dst_sel:DWORD dst_unused:UNUSED_PAD src0_sel:WORD_1 src1_sel:DWORD
	v_mul_f16_sdwa v144, v59, v144 dst_sel:DWORD dst_unused:UNUSED_PAD src0_sel:WORD_1 src1_sel:DWORD
	v_add_f16_e32 v152, v152, v169
	v_mul_f16_sdwa v169, v59, v149 dst_sel:DWORD dst_unused:UNUSED_PAD src0_sel:WORD_1 src1_sel:DWORD
	v_add_f16_e32 v153, v164, v153
	v_add_f16_e32 v164, v173, v167
	v_add_f16_e32 v73, v177, v73
	v_fmamk_f16 v177, v59, 0xb8d2, v171
	v_fmamk_f16 v167, v170, 0x35c8, v169
	v_fma_f16 v171, v59, 0xb8d2, -v171
	v_mul_f16_sdwa v142, v170, v142 dst_sel:DWORD dst_unused:UNUSED_PAD src0_sel:WORD_1 src1_sel:DWORD
	v_fma_f16 v138, v59, 0x3b76, -v138
	v_fmac_f16_e32 v169, 0xb5c8, v170
	v_add_f16_e32 v167, v167, v168
	v_fmamk_f16 v168, v170, 0x31e1, v144
	v_add_f16_e32 v147, v171, v147
	v_fmamk_f16 v171, v59, 0xbbdd, v142
	v_add_f16_e32 v138, v138, v150
	v_add_f16_e32 v150, v169, v166
	v_mul_f16_sdwa v166, v170, v145 dst_sel:DWORD dst_unused:UNUSED_PAD src0_sel:WORD_1 src1_sel:DWORD
	v_add_f16_e32 v155, v168, v155
	v_pk_add_f16 v168, v56, v57 neg_lo:[0,1] neg_hi:[0,1]
	v_add_f16_e32 v154, v171, v154
	v_fma_f16 v142, v59, 0xbbdd, -v142
	v_fmac_f16_e32 v144, 0xb1e1, v170
	v_fmamk_f16 v169, v59, 0x39e9, v166
	v_mul_f16_sdwa v171, v59, v127 dst_sel:DWORD dst_unused:UNUSED_PAD src0_sel:WORD_1 src1_sel:DWORD
	v_pk_add_f16 v56, v57, v56
	v_pk_mul_f16 v57, 0xb1e1, v168 op_sel_hi:[0,1]
	v_add_f16_e32 v139, v142, v139
	v_add_f16_e32 v142, v144, v160
	;; [unrolled: 1-line block ×3, first 2 shown]
	v_fmamk_f16 v158, v170, 0xb964, v171
	v_pk_fma_f16 v160, 0xbbdd, v56, v57 op_sel:[0,0,1] op_sel_hi:[0,1,0]
	v_pk_fma_f16 v57, 0xbbdd, v56, v57 op_sel:[0,0,1] op_sel_hi:[0,1,0] neg_lo:[0,0,1] neg_hi:[0,0,1]
	v_mul_f16_sdwa v149, v56, v149 dst_sel:DWORD dst_unused:UNUSED_PAD src0_sel:WORD_1 src1_sel:DWORD
	v_mul_f16_sdwa v133, v56, v133 dst_sel:DWORD dst_unused:UNUSED_PAD src0_sel:WORD_1 src1_sel:DWORD
	v_add_f16_e32 v158, v158, v159
	v_mul_f16_sdwa v169, v168, v174 dst_sel:DWORD dst_unused:UNUSED_PAD src0_sel:WORD_1 src1_sel:DWORD
	v_bfi_b32 v159, 0xffff, v160, v57
	v_fma_f16 v166, v59, 0x39e9, -v166
	v_mul_f16_sdwa v134, v168, v134 dst_sel:DWORD dst_unused:UNUSED_PAD src0_sel:WORD_1 src1_sel:DWORD
	v_mul_f16_sdwa v145, v168, v145 dst_sel:DWORD dst_unused:UNUSED_PAD src0_sel:WORD_1 src1_sel:DWORD
	v_fmamk_f16 v173, v56, 0x3b76, v169
	v_pk_add_f16 v159, v159, v161
	v_fmamk_f16 v161, v168, 0xb5c8, v149
	v_fmac_f16_e32 v149, 0x35c8, v168
	v_add_f16_e32 v156, v166, v156
	v_fma_f16 v166, v56, 0x3b76, -v169
	v_fmamk_f16 v169, v56, 0xbacd, v134
	v_fma_f16 v134, v56, 0xbacd, -v134
	v_add_f16_e32 v78, v149, v78
	v_fmamk_f16 v149, v168, 0x3836, v133
	v_mul_f16_sdwa v127, v56, v127 dst_sel:DWORD dst_unused:UNUSED_PAD src0_sel:WORD_1 src1_sel:DWORD
	v_add_f16_e32 v165, v177, v165
	v_fmac_f16_e32 v133, 0xb836, v168
	v_mul_f16_sdwa v131, v168, v131 dst_sel:DWORD dst_unused:UNUSED_PAD src0_sel:WORD_1 src1_sel:DWORD
	v_add_f16_e32 v149, v149, v151
	v_fmamk_f16 v151, v56, 0x39e9, v145
	v_add_f16_e32 v163, v181, v163
	v_add_f16_e32 v83, v134, v83
	v_fmamk_f16 v134, v168, 0xb964, v127
	v_mul_f16_sdwa v140, v168, v140 dst_sel:DWORD dst_unused:UNUSED_PAD src0_sel:WORD_1 src1_sel:DWORD
	v_add_f16_e32 v133, v133, v137
	v_add_f16_e32 v137, v151, v165
	v_fma_f16 v145, v56, 0x39e9, -v145
	v_fmamk_f16 v151, v56, 0xb8d2, v131
	v_mul_f16_sdwa v130, v56, v130 dst_sel:DWORD dst_unused:UNUSED_PAD src0_sel:WORD_1 src1_sel:DWORD
	v_add_f16_e32 v71, v180, v71
	v_add_f16_e32 v163, v179, v163
	;; [unrolled: 1-line block ×3, first 2 shown]
	v_fmamk_f16 v152, v56, 0x3722, v140
	v_fma_f16 v140, v56, 0x3722, -v140
	v_mul_f16_sdwa v125, v168, v125 dst_sel:DWORD dst_unused:UNUSED_PAD src0_sel:WORD_1 src1_sel:DWORD
	v_add_f16_e32 v145, v145, v147
	v_add_f16_e32 v147, v151, v164
	v_fmamk_f16 v151, v168, 0x3a62, v130
	v_add_f16_e32 v71, v173, v71
	v_add_f16_e32 v161, v161, v162
	;; [unrolled: 1-line block ×4, first 2 shown]
	v_fmamk_f16 v140, v56, 0xb461, v125
	v_fma_f16 v131, v56, 0xb8d2, -v131
	v_fmac_f16_e32 v130, 0xba62, v168
	v_mul_f16_sdwa v124, v56, v124 dst_sel:DWORD dst_unused:UNUSED_PAD src0_sel:WORD_1 src1_sel:DWORD
	v_add_f16_e32 v151, v151, v167
	v_mul_f16_sdwa v126, v56, v126 dst_sel:DWORD dst_unused:UNUSED_PAD src0_sel:WORD_1 src1_sel:DWORD
	v_pk_mul_f16 v123, 0xbbdd, v123 op_sel_hi:[0,1]
	v_add_f16_e32 v140, v140, v144
	v_pack_b32_f16 v144, v162, v149
	v_pack_b32_f16 v71, v71, v161
	s_barrier
	buffer_gl0_inv
	v_add_f16_e32 v131, v131, v138
	v_add_f16_e32 v130, v130, v150
	v_fmamk_f16 v138, v168, 0xbb29, v124
	v_add_f16_e32 v150, v152, v154
	v_fmac_f16_e32 v124, 0x3b29, v168
	v_fmamk_f16 v152, v168, 0x3bb2, v126
	v_pack_b32_f16 v147, v147, v151
	v_pk_fma_f16 v149, 0xb1e1, v121, v123 op_sel:[0,0,1] op_sel_hi:[0,1,0]
	v_pack_b32_f16 v134, v137, v134
	ds_write2_b32 v110, v128, v159 offset1:1
	ds_write2_b32 v110, v71, v144 offset0:2 offset1:3
	v_pk_mul_f16 v71, 0x3b76, v132 op_sel_hi:[0,1]
	v_add_f16_e32 v124, v124, v142
	v_add_f16_e32 v142, v152, v158
	v_alignbit_b32 v128, s0, v149, 16
	ds_write2_b32 v110, v134, v147 offset0:4 offset1:5
	v_pk_fma_f16 v121, 0xb1e1, v121, v123 op_sel:[0,0,1] op_sel_hi:[0,1,0] neg_lo:[0,1,0] neg_hi:[0,1,0]
	v_pk_fma_f16 v123, 0x35c8, v129, v71 op_sel:[0,0,1] op_sel_hi:[0,1,0]
	v_pk_mul_f16 v134, 0xbacd, v136 op_sel_hi:[0,1]
	v_alignbit_b32 v136, s0, v54, 16
	v_pack_b32_f16 v132, v140, v142
	v_pk_add_f16 v128, v54, v128
	v_pk_add_f16 v121, v54, v121 op_sel:[1,0] op_sel_hi:[0,1]
	v_alignbit_b32 v137, s0, v123, 16
	v_pk_fma_f16 v71, 0x35c8, v129, v71 op_sel:[0,0,1] op_sel_hi:[0,1,0] neg_lo:[0,1,0] neg_hi:[0,1,0]
	v_pk_fma_f16 v129, 0xb836, v135, v134 op_sel:[0,0,1] op_sel_hi:[0,1,0]
	v_pk_add_f16 v136, v136, v149
	v_pk_mul_f16 v140, 0x39e9, v143 op_sel_hi:[0,1]
	v_bfi_b32 v55, 0xffff, v122, v55
	v_pk_add_f16 v128, v137, v128
	v_pk_add_f16 v71, v71, v121
	v_alignbit_b32 v121, s0, v129, 16
	v_pk_fma_f16 v134, 0xb836, v135, v134 op_sel:[0,0,1] op_sel_hi:[0,1,0] neg_lo:[0,1,0] neg_hi:[0,1,0]
	v_pk_fma_f16 v135, 0x3964, v141, v140 op_sel:[0,0,1] op_sel_hi:[0,1,0]
	v_pk_add_f16 v123, v123, v136
	v_pk_mul_f16 v136, 0xb8d2, v148 op_sel_hi:[0,1]
	v_pk_add_f16 v54, v54, v55
	v_bfi_b32 v55, 0xffff, v69, v66
	v_pk_add_f16 v121, v121, v128
	v_pk_add_f16 v71, v134, v71
	v_alignbit_b32 v128, s0, v135, 16
	v_pk_fma_f16 v134, 0x3964, v141, v140 op_sel:[0,0,1] op_sel_hi:[0,1,0] neg_lo:[0,1,0] neg_hi:[0,1,0]
	v_pk_fma_f16 v137, 0xba62, v146, v136 op_sel:[0,0,1] op_sel_hi:[0,1,0]
	v_pk_add_f16 v123, v129, v123
	v_pk_mul_f16 v58, 0x3722, v58 op_sel_hi:[0,1]
	v_pk_add_f16 v54, v55, v54
	v_bfi_b32 v55, 0xffff, v68, v67
	v_pk_add_f16 v121, v128, v121
	v_pk_add_f16 v71, v134, v71
	v_alignbit_b32 v128, s0, v137, 16
	v_pk_fma_f16 v129, 0xba62, v146, v136 op_sel:[0,0,1] op_sel_hi:[0,1,0] neg_lo:[0,1,0] neg_hi:[0,1,0]
	v_pk_add_f16 v123, v135, v123
	v_pk_fma_f16 v122, 0x3b29, v172, v58 op_sel:[0,0,1] op_sel_hi:[0,1,0]
	v_pk_mul_f16 v59, 0xb461, v59 op_sel_hi:[0,1]
	v_pk_add_f16 v54, v55, v54
	v_bfi_b32 v55, 0xffff, v65, v62
	v_fma_f16 v125, v56, 0xb461, -v125
	v_pk_add_f16 v121, v128, v121
	v_pk_add_f16 v71, v129, v71
	;; [unrolled: 1-line block ×3, first 2 shown]
	v_alignbit_b32 v69, s0, v122, 16
	v_pk_fma_f16 v58, 0x3b29, v172, v58 op_sel:[0,0,1] op_sel_hi:[0,1,0] neg_lo:[0,1,0] neg_hi:[0,1,0]
	v_pk_fma_f16 v123, 0xbbb2, v170, v59 op_sel:[0,0,1] op_sel_hi:[0,1,0]
	v_pk_mul_f16 v56, 0x2de8, v56 op_sel_hi:[0,1]
	v_pk_add_f16 v54, v55, v54
	v_bfi_b32 v55, 0xffff, v64, v63
	v_pk_add_f16 v67, v69, v121
	v_pk_add_f16 v58, v58, v71
	v_alignbit_b32 v68, s0, v123, 16
	v_pk_add_f16 v62, v122, v66
	v_pk_fma_f16 v59, 0xbbb2, v170, v59 op_sel:[0,0,1] op_sel_hi:[0,1,0] neg_lo:[0,1,0] neg_hi:[0,1,0]
	v_pk_fma_f16 v66, 0x3bf7, v168, v56 op_sel:[0,0,1] op_sel_hi:[0,1,0]
	v_fmac_f16_e32 v171, 0x3964, v170
	v_pk_add_f16 v54, v55, v54
	v_bfi_b32 v55, 0xffff, v61, v176
	v_pk_add_f16 v65, v68, v67
	v_pk_add_f16 v58, v59, v58
	v_pk_fma_f16 v56, 0x3bf7, v168, v56 op_sel:[0,0,1] op_sel_hi:[0,1,0] neg_lo:[0,1,0] neg_hi:[0,1,0]
	v_pk_add_f16 v59, v123, v62
	v_alignbit_b32 v62, s0, v66, 16
	v_add_f16_e32 v157, v171, v157
	v_fmac_f16_e32 v126, 0xbbb2, v168
	v_fmac_f16_e32 v127, 0x3964, v168
	v_pk_add_f16 v54, v55, v54
	v_bfi_b32 v55, 0xffff, v60, v175
	v_add_f16_e32 v138, v138, v155
	v_pk_add_f16 v56, v56, v58
	v_pk_add_f16 v58, v66, v59
	;; [unrolled: 1-line block ×3, first 2 shown]
	v_add_f16_e32 v125, v125, v156
	v_add_f16_e32 v126, v126, v157
	;; [unrolled: 1-line block ×4, first 2 shown]
	v_pk_add_f16 v54, v55, v54
	v_bfi_b32 v55, 0xffff, v57, v160
	v_add_nc_u32_e32 v112, 0x44, v111
	v_add_nc_u32_e32 v111, 0x88, v111
	v_pack_b32_f16 v138, v150, v138
	v_alignbit_b32 v58, v58, v56, 16
	v_pack_b32_f16 v56, v59, v56
	v_pack_b32_f16 v59, v139, v124
	;; [unrolled: 1-line block ×7, first 2 shown]
	v_pk_add_f16 v54, v55, v54
	ds_write2_b32 v110, v138, v132 offset0:6 offset1:7
	ds_write2_b32 v110, v56, v58 offset0:8 offset1:9
	;; [unrolled: 1-line block ×5, first 2 shown]
	ds_write_b32 v110, v54 offset:64
	s_and_saveexec_b32 s0, vcc_lo
	s_cbranch_execz .LBB0_13
; %bb.12:
	v_add_f16_e32 v54, v52, v113
	v_add_f16_sdwa v110, v47, v119 dst_sel:DWORD dst_unused:UNUSED_PAD src0_sel:WORD_1 src1_sel:DWORD
	v_sub_f16_e32 v57, v48, v29
	v_sub_f16_e32 v60, v52, v25
	v_add_f16_e32 v125, v95, v120
	v_add_f16_e32 v56, v53, v54
	v_sub_f16_e32 v54, v51, v26
	v_mul_f16_e32 v180, 0xbbdd, v110
	v_sub_f16_e32 v58, v53, v24
	v_add_f16_e32 v121, v96, v118
	v_add_f16_e32 v59, v50, v56
	v_sub_f16_e32 v56, v49, v28
	v_sub_f16_sdwa v73, v119, v47 dst_sel:DWORD dst_unused:UNUSED_PAD src0_sel:DWORD src1_sel:WORD_1
	v_mul_f16_e32 v179, 0x3b76, v125
	v_sub_f16_e32 v55, v50, v27
	v_add_f16_e32 v61, v51, v59
	v_add_f16_e32 v127, v97, v117
	;; [unrolled: 1-line block ×3, first 2 shown]
	v_sub_f16_e32 v78, v120, v95
	v_mul_f16_e32 v177, 0xbacd, v121
	v_add_f16_e32 v61, v48, v61
	v_mul_f16_e32 v184, 0xb1e1, v73
	v_fmamk_f16 v63, v58, 0xb5c8, v179
	v_add_f16_e32 v68, v98, v116
	v_add_f16_e32 v52, v24, v53
	;; [unrolled: 1-line block ×6, first 2 shown]
	v_sub_f16_e32 v141, v118, v96
	v_add_f16_e32 v62, v46, v62
	v_mul_f16_e32 v175, 0x39e9, v127
	v_mul_f16_e32 v185, 0x35c8, v78
	v_fmamk_f16 v64, v55, 0x3836, v177
	v_add_f16_e32 v71, v99, v115
	v_add_f16_e32 v49, v47, v62
	v_fmamk_f16 v62, v60, 0x31e1, v180
	v_add_f16_e32 v53, v27, v50
	v_sub_f16_e32 v182, v117, v97
	v_mul_f16_e32 v171, 0xb8d2, v68
	v_add_f16_e32 v49, v44, v49
	v_add_f16_e32 v62, v114, v62
	v_mul_f16_e32 v186, 0xb836, v141
	v_add_f16_e32 v83, v101, v100
	v_sub_f16_e32 v183, v116, v98
	v_add_f16_e32 v49, v45, v49
	v_add_f16_e32 v62, v63, v62
	v_fmamk_f16 v63, v54, 0xb964, v175
	v_mul_f16_e32 v161, 0x3722, v71
	v_mul_f16_e32 v187, 0x3964, v182
	v_add_f16_e32 v28, v28, v49
	v_fmamk_f16 v49, v59, 0xbbdd, v184
	v_add_f16_e32 v62, v64, v62
	v_fmamk_f16 v64, v57, 0x3a62, v171
	v_sub_f16_e32 v50, v46, v45
	v_add_f16_e32 v28, v29, v28
	v_fmamk_f16 v29, v52, 0x3b76, v185
	v_add_f16_e32 v49, v113, v49
	v_mul_f16_e32 v166, 0xb461, v83
	v_mul_f16_e32 v188, 0xba62, v183
	v_add_f16_e32 v26, v26, v28
	v_fmamk_f16 v28, v53, 0xbacd, v186
	v_add_f16_e32 v29, v29, v49
	v_add_f16_e32 v49, v63, v62
	v_mul_f16_e32 v189, 0xbacd, v110
	v_add_f16_e32 v26, v27, v26
	v_fmamk_f16 v27, v61, 0x39e9, v187
	v_fmamk_f16 v62, v56, 0xbb29, v161
	v_add_f16_e32 v28, v28, v29
	v_add_f16_e32 v29, v64, v49
	;; [unrolled: 1-line block ×3, first 2 shown]
	v_sub_f16_e32 v190, v115, v99
	v_fmamk_f16 v26, v50, 0x3bb2, v166
	v_fmamk_f16 v49, v51, 0xb8d2, v188
	v_add_f16_e32 v27, v27, v28
	v_add_f16_e32 v28, v62, v29
	;; [unrolled: 1-line block ×3, first 2 shown]
	v_fmamk_f16 v25, v60, 0x3836, v189
	v_mul_f16_e32 v191, 0x3722, v125
	v_mul_f16_e32 v192, 0x3b29, v190
	v_add_f16_e32 v193, v102, v103
	v_add_f16_e32 v28, v26, v28
	;; [unrolled: 1-line block ×4, first 2 shown]
	v_fmamk_f16 v49, v58, 0xbb29, v191
	v_add_f16_e32 v26, v45, v46
	v_fmamk_f16 v45, v48, 0x3722, v192
	v_mul_f16_e32 v194, 0x2de8, v121
	v_mul_f16_e32 v195, 0x2de8, v193
	v_sub_f16_e32 v27, v47, v44
	v_sub_f16_e32 v196, v100, v101
	v_add_f16_e32 v25, v49, v25
	v_add_f16_e32 v29, v45, v29
	v_fmamk_f16 v45, v55, 0x3bf7, v194
	v_fmamk_f16 v46, v27, 0xbbf7, v195
	v_mul_f16_e32 v197, 0xbbb2, v196
	v_mul_f16_e32 v198, 0xb8d2, v127
	v_mul_f16_e32 v199, 0x3b76, v68
	v_add_f16_e32 v45, v45, v25
	v_add_f16_e32 v25, v46, v28
	v_fmamk_f16 v28, v26, 0xb461, v197
	v_mul_f16_e32 v200, 0xbbdd, v71
	v_sub_f16_e32 v201, v103, v102
	v_mul_f16_e32 v203, 0x39e9, v83
	v_mul_f16_e32 v204, 0xb836, v73
	v_add_f16_e32 v28, v28, v29
	v_fmamk_f16 v29, v54, 0xba62, v198
	v_mul_f16_e32 v202, 0x3bf7, v201
	v_mul_f16_e32 v205, 0x3b29, v78
	;; [unrolled: 1-line block ×4, first 2 shown]
	v_add_f16_e32 v45, v29, v45
	v_add_f16_e32 v29, v44, v47
	v_fmamk_f16 v44, v57, 0x35c8, v199
	v_fmamk_f16 v46, v52, 0x3722, v205
	v_mul_f16_e32 v208, 0xb8d2, v110
	v_mul_f16_e32 v209, 0xb461, v125
	;; [unrolled: 1-line block ×3, first 2 shown]
	v_add_f16_e32 v44, v44, v45
	v_fmamk_f16 v45, v56, 0x31e1, v200
	v_mul_f16_e32 v211, 0x3b76, v121
	v_fmamk_f16 v49, v58, 0xbbb2, v209
	v_mul_f16_e32 v212, 0xb1e1, v190
	v_mul_f16_e32 v213, 0xb461, v193
	v_add_f16_e32 v44, v45, v44
	v_fmamk_f16 v45, v29, 0x2de8, v202
	v_mul_f16_e32 v214, 0xbacd, v127
	v_mul_f16_e32 v215, 0x3964, v196
	v_mul_f16_e32 v216, 0x2de8, v68
	v_mul_f16_e32 v217, 0x39e9, v71
	v_add_f16_e32 v28, v45, v28
	v_fmamk_f16 v45, v50, 0xb964, v203
	v_mul_f16_e32 v218, 0xbbb2, v201
	v_mul_f16_e32 v219, 0xbbdd, v83
	;; [unrolled: 6-line block ×3, first 2 shown]
	v_fmamk_f16 v62, v52, 0xb461, v221
	v_mul_f16_e32 v224, 0xb461, v110
	v_add_f16_e32 v45, v113, v45
	v_mul_f16_e32 v225, 0xbacd, v125
	v_mul_f16_e32 v226, 0x3bf7, v183
	;; [unrolled: 1-line block ×4, first 2 shown]
	v_add_f16_e32 v45, v46, v45
	v_fmamk_f16 v46, v53, 0x2de8, v206
	v_fmamk_f16 v63, v58, 0xb836, v225
	v_mul_f16_e32 v229, 0x3722, v193
	v_mul_f16_e32 v230, 0x3722, v127
	;; [unrolled: 1-line block ×3, first 2 shown]
	v_add_f16_e32 v45, v46, v45
	v_fmamk_f16 v46, v61, 0xb8d2, v207
	v_mul_f16_e32 v232, 0xbbdd, v68
	v_mul_f16_e32 v233, 0x2de8, v71
	v_mul_f16_e32 v234, 0x3b29, v201
	v_mul_f16_e32 v181, 0x3b76, v83
	v_add_f16_e32 v45, v46, v45
	v_fmamk_f16 v46, v60, 0x3a62, v208
	v_mul_f16_e32 v235, 0xbbb2, v73
	v_mul_f16_e32 v236, 0x3836, v78
	;; [unrolled: 1-line block ×4, first 2 shown]
	v_add_f16_e32 v46, v114, v46
	v_mul_f16_e32 v239, 0x2de8, v110
	v_fmamk_f16 v64, v52, 0xbacd, v236
	v_mul_f16_e32 v240, 0xbbdd, v125
	v_mul_f16_e32 v241, 0xb1e1, v183
	v_add_f16_e32 v46, v49, v46
	v_fmamk_f16 v49, v51, 0x3b76, v210
	v_mul_f16_e32 v172, 0xb461, v121
	v_fmamk_f16 v65, v58, 0x31e1, v240
	v_mul_f16_e32 v242, 0x3bf7, v190
	v_mul_f16_e32 v176, 0xb8d2, v193
	v_add_f16_e32 v45, v49, v45
	v_fmamk_f16 v49, v55, 0x35c8, v211
	v_mul_f16_e32 v173, 0x3b76, v127
	v_mul_f16_e32 v178, 0xb5c8, v196
	v_mul_f16_e32 v162, 0x3722, v68
	v_mul_f16_e32 v160, 0xbacd, v71
	v_add_f16_e32 v46, v49, v46
	v_fmamk_f16 v49, v48, 0xbbdd, v212
	v_mul_f16_e32 v150, 0xba62, v201
	v_mul_f16_e32 v156, 0xb8d2, v83
	;; [unrolled: 6-line block ×3, first 2 shown]
	v_fmamk_f16 v66, v52, 0xbbdd, v244
	v_mul_f16_e32 v168, 0x3722, v110
	v_add_f16_e32 v44, v49, v44
	v_fmamk_f16 v49, v54, 0x3836, v214
	v_mul_f16_e32 v169, 0xb8d2, v125
	v_mul_f16_e32 v167, 0xbb29, v183
	;; [unrolled: 1-line block ×4, first 2 shown]
	v_add_f16_e32 v46, v49, v46
	v_fmamk_f16 v49, v26, 0x39e9, v215
	v_fmamk_f16 v67, v58, 0x3a62, v169
	v_mul_f16_e32 v164, 0x39e9, v193
	v_mul_f16_e32 v159, 0xb461, v127
	;; [unrolled: 1-line block ×3, first 2 shown]
	v_add_f16_e32 v45, v49, v45
	v_fmamk_f16 v49, v57, 0xbbf7, v216
	v_mul_f16_e32 v148, 0x39e9, v68
	v_mul_f16_e32 v139, 0x3b76, v71
	;; [unrolled: 1-line block ×4, first 2 shown]
	v_add_f16_e32 v46, v49, v46
	v_fmamk_f16 v49, v56, 0x3964, v217
	v_mul_f16_e32 v152, 0xbb29, v73
	v_mul_f16_e32 v153, 0xba62, v78
	;; [unrolled: 1-line block ×4, first 2 shown]
	v_add_f16_e32 v46, v49, v46
	v_fmamk_f16 v49, v29, 0xb461, v218
	v_fmamk_f16 v69, v52, 0xb8d2, v153
	v_mul_f16_e32 v158, 0x39e9, v110
	v_mul_f16_e32 v157, 0x2de8, v125
	v_mul_f16_e32 v146, 0x3964, v183
	v_add_f16_e32 v45, v49, v45
	v_fmamk_f16 v49, v50, 0x31e1, v219
	v_mul_f16_e32 v154, 0xb8d2, v121
	v_fmamk_f16 v122, v58, 0x3bf7, v157
	v_mul_f16_e32 v144, 0xb5c8, v190
	v_mul_f16_e32 v143, 0xbacd, v193
	v_add_f16_e32 v46, v49, v46
	v_fmamk_f16 v49, v59, 0xb8d2, v220
	v_mul_f16_e32 v155, 0xbbdd, v127
	v_mul_f16_e32 v134, 0xbbf7, v196
	;; [unrolled: 1-line block ×4, first 2 shown]
	v_add_f16_e32 v49, v113, v49
	v_mul_f16_e32 v136, 0xb964, v73
	v_mul_f16_e32 v129, 0xbbf7, v78
	;; [unrolled: 1-line block ×4, first 2 shown]
	v_add_f16_e32 v49, v62, v49
	v_fmamk_f16 v62, v53, 0x3b76, v222
	v_add_f16_e32 v119, v119, v114
	v_fmamk_f16 v110, v60, 0x35c8, v142
	v_fmamk_f16 v125, v58, 0x3964, v133
	v_fmac_f16_e32 v180, 0xb1e1, v60
	v_add_f16_e32 v49, v62, v49
	v_fmamk_f16 v62, v61, 0xbacd, v223
	v_add_f16_e32 v110, v114, v110
	v_add_f16_e32 v120, v120, v119
	v_mul_f16_e32 v119, 0xb8d2, v71
	v_fmac_f16_e32 v179, 0x35c8, v58
	v_add_f16_e32 v49, v62, v49
	v_fmamk_f16 v62, v60, 0x3bb2, v224
	v_add_f16_e32 v110, v125, v110
	v_mul_f16_e32 v125, 0x3836, v183
	v_add_f16_e32 v120, v118, v120
	v_mul_f16_e32 v118, 0xb964, v78
	v_add_f16_e32 v62, v114, v62
	v_fmamk_f16 v71, v56, 0x3a62, v119
	v_fmac_f16_e32 v177, 0xb836, v55
	v_fmac_f16_e32 v175, 0x3964, v54
	v_fmamk_f16 v78, v52, 0x39e9, v118
	v_add_f16_e32 v62, v63, v62
	v_fmamk_f16 v63, v51, 0x2de8, v226
	v_fmac_f16_e32 v171, 0xba62, v57
	v_fmac_f16_e32 v161, 0x3b29, v56
	v_fmac_f16_e32 v166, 0xbbb2, v50
	v_fmac_f16_e32 v189, 0xb836, v60
	v_add_f16_e32 v49, v63, v49
	v_fmamk_f16 v63, v55, 0xb964, v227
	v_fmac_f16_e32 v191, 0x3b29, v58
	v_fmac_f16_e32 v194, 0xbbf7, v55
	v_fmac_f16_e32 v195, 0x3bf7, v27
	v_fmac_f16_e32 v198, 0x3a62, v54
	;; [unrolled: 6-line block ×3, first 2 shown]
	v_add_f16_e32 v49, v63, v49
	v_fmamk_f16 v63, v27, 0xbb29, v229
	v_fmac_f16_e32 v224, 0xbbb2, v60
	v_fmac_f16_e32 v225, 0x3836, v58
	v_fma_f16 v153, v52, 0xb8d2, -v153
	v_fmac_f16_e32 v157, 0xbbf7, v58
	v_add_f16_e32 v46, v63, v46
	v_fmamk_f16 v63, v54, 0x3b29, v230
	v_fmac_f16_e32 v142, 0xb5c8, v60
	v_fmac_f16_e32 v133, 0xb964, v58
	v_fma_f16 v58, v59, 0x39e9, -v136
	v_fmac_f16_e32 v211, 0xb5c8, v55
	v_add_f16_e32 v62, v63, v62
	v_fmamk_f16 v63, v26, 0xbbdd, v231
	v_fmac_f16_e32 v227, 0x3964, v55
	v_add_f16_e32 v58, v113, v58
	v_fmac_f16_e32 v214, 0xb836, v54
	v_fmac_f16_e32 v230, 0xbb29, v54
	v_add_f16_e32 v49, v63, v49
	v_fmamk_f16 v63, v57, 0x31e1, v232
	v_fmac_f16_e32 v199, 0xb5c8, v57
	v_fmac_f16_e32 v216, 0x3bf7, v57
	v_fmac_f16_e32 v232, 0xb1e1, v57
	v_fmac_f16_e32 v119, 0xba62, v56
	v_add_f16_e32 v62, v63, v62
	v_fmamk_f16 v63, v56, 0xbbf7, v233
	v_fmac_f16_e32 v200, 0xb1e1, v56
	v_fmac_f16_e32 v217, 0xb964, v56
	;; [unrolled: 6-line block ×3, first 2 shown]
	v_fmac_f16_e32 v229, 0x3b29, v27
	v_pack_b32_f16 v44, v45, v44
	v_add_f16_e32 v49, v63, v49
	v_fmamk_f16 v63, v50, 0x35c8, v181
	v_fmac_f16_e32 v181, 0xb5c8, v50
	v_pack_b32_f16 v25, v28, v25
	v_pack_b32_f16 v45, v49, v46
	v_add_f16_e32 v62, v63, v62
	v_fmamk_f16 v63, v59, 0xb461, v235
	v_add_f16_e32 v63, v113, v63
	v_add_f16_e32 v63, v64, v63
	v_fmamk_f16 v64, v53, 0x39e9, v237
	v_add_f16_e32 v63, v64, v63
	v_fmamk_f16 v64, v61, 0x3722, v238
	;; [unrolled: 2-line block ×3, first 2 shown]
	v_fmac_f16_e32 v239, 0xbbf7, v60
	v_add_f16_e32 v64, v114, v64
	v_add_f16_e32 v64, v65, v64
	v_fmamk_f16 v65, v51, 0xbbdd, v241
	v_add_f16_e32 v63, v65, v63
	v_fmamk_f16 v65, v55, 0xbbb2, v172
	v_fmac_f16_e32 v172, 0x3bb2, v55
	v_add_f16_e32 v64, v65, v64
	v_fmamk_f16 v65, v48, 0x2de8, v242
	v_add_f16_e32 v63, v65, v63
	v_fmamk_f16 v65, v27, 0x3a62, v176
	v_fmac_f16_e32 v176, 0xba62, v27
	v_add_f16_e32 v62, v65, v62
	v_fmamk_f16 v65, v54, 0xb5c8, v173
	v_fmac_f16_e32 v173, 0x35c8, v54
	v_add_f16_e32 v64, v65, v64
	v_fmamk_f16 v65, v26, 0x3b76, v178
	v_add_f16_e32 v63, v65, v63
	v_fmamk_f16 v65, v57, 0x3b29, v162
	v_fmac_f16_e32 v162, 0xbb29, v57
	v_add_f16_e32 v64, v65, v64
	v_fmamk_f16 v65, v56, 0x3836, v160
	v_fmac_f16_e32 v160, 0xb836, v56
	v_add_f16_e32 v64, v65, v64
	v_fmamk_f16 v65, v29, 0xb8d2, v150
	v_fma_f16 v150, v29, 0xb8d2, -v150
	v_add_f16_e32 v63, v65, v63
	v_fmamk_f16 v65, v50, 0xba62, v156
	v_fmac_f16_e32 v156, 0x3a62, v50
	v_add_f16_e32 v64, v65, v64
	v_fmamk_f16 v65, v59, 0x2de8, v243
	v_add_f16_e32 v65, v113, v65
	v_add_f16_e32 v65, v66, v65
	v_fmamk_f16 v66, v53, 0xb461, v174
	v_add_f16_e32 v65, v66, v65
	v_fmamk_f16 v66, v61, 0x3b76, v170
	;; [unrolled: 2-line block ×3, first 2 shown]
	v_fmac_f16_e32 v168, 0xbb29, v60
	v_add_f16_e32 v66, v114, v66
	v_add_f16_e32 v66, v67, v66
	v_fmamk_f16 v67, v51, 0x3722, v167
	v_add_f16_e32 v65, v67, v65
	v_fmamk_f16 v67, v55, 0xb1e1, v165
	v_fmac_f16_e32 v165, 0x31e1, v55
	v_add_f16_e32 v66, v67, v66
	v_fmamk_f16 v67, v48, 0xbacd, v163
	v_add_f16_e32 v65, v67, v65
	v_fmamk_f16 v67, v27, 0xb964, v164
	v_fmac_f16_e32 v164, 0x3964, v27
	v_add_f16_e32 v64, v67, v64
	v_fmamk_f16 v67, v54, 0xbbb2, v159
	v_fmac_f16_e32 v159, 0x3bb2, v54
	v_add_f16_e32 v66, v67, v66
	v_fmamk_f16 v67, v26, 0xb8d2, v140
	v_fma_f16 v140, v26, 0xb8d2, -v140
	v_add_f16_e32 v65, v67, v65
	v_fmamk_f16 v67, v57, 0xb964, v148
	v_fmac_f16_e32 v148, 0x3964, v57
	v_add_f16_e32 v66, v67, v66
	v_fmamk_f16 v67, v56, 0x35c8, v139
	v_fmac_f16_e32 v139, 0xb5c8, v56
	v_add_f16_e32 v66, v67, v66
	v_fmamk_f16 v67, v29, 0x39e9, v135
	v_fma_f16 v135, v29, 0x39e9, -v135
	v_add_f16_e32 v65, v67, v65
	v_fmamk_f16 v67, v50, 0x3bf7, v138
	v_fmac_f16_e32 v138, 0xbbf7, v50
	v_add_f16_e32 v66, v67, v66
	v_fmamk_f16 v67, v59, 0x3722, v152
	v_fma_f16 v152, v59, 0x3722, -v152
	v_add_f16_e32 v67, v113, v67
	v_add_f16_e32 v152, v113, v152
	;; [unrolled: 1-line block ×3, first 2 shown]
	v_fmamk_f16 v69, v53, 0xbbdd, v149
	v_add_f16_e32 v152, v153, v152
	v_fma_f16 v149, v53, 0xbbdd, -v149
	v_add_f16_e32 v67, v69, v67
	v_fmamk_f16 v69, v61, 0xb461, v147
	v_add_f16_e32 v149, v149, v152
	v_fma_f16 v147, v61, 0xb461, -v147
	v_add_f16_e32 v67, v69, v67
	v_fmamk_f16 v69, v60, 0x3964, v158
	v_fmac_f16_e32 v158, 0xb964, v60
	v_add_f16_e32 v147, v147, v149
	v_add_f16_e32 v69, v114, v69
	;; [unrolled: 1-line block ×4, first 2 shown]
	v_fmamk_f16 v122, v51, 0x39e9, v146
	v_add_f16_e32 v153, v157, v153
	v_add_f16_e32 v67, v122, v67
	v_fmamk_f16 v122, v55, 0x3a62, v154
	v_fmac_f16_e32 v154, 0xba62, v55
	v_add_f16_e32 v69, v122, v69
	v_fmamk_f16 v122, v48, 0x3b76, v144
	v_add_f16_e32 v67, v122, v67
	v_fmamk_f16 v122, v27, 0x3836, v143
	v_fmac_f16_e32 v143, 0xb836, v27
	v_add_f16_e32 v66, v122, v66
	v_fmamk_f16 v122, v54, 0x31e1, v155
	v_fmac_f16_e32 v155, 0xb1e1, v54
	v_add_f16_e32 v69, v122, v69
	v_fmamk_f16 v122, v26, 0x2de8, v134
	v_fma_f16 v134, v26, 0x2de8, -v134
	v_add_f16_e32 v67, v122, v67
	v_fmamk_f16 v122, v57, 0xb836, v151
	v_fmac_f16_e32 v151, 0x3836, v57
	v_add_f16_e32 v69, v122, v69
	v_fmamk_f16 v122, v56, 0xbbb2, v137
	v_fmac_f16_e32 v137, 0x3bb2, v56
	v_pack_b32_f16 v56, v65, v64
	v_add_f16_e32 v122, v122, v69
	v_mul_f16_e32 v69, 0xb836, v201
	v_fmamk_f16 v123, v29, 0xbacd, v69
	v_fma_f16 v69, v29, 0xbacd, -v69
	v_add_f16_e32 v67, v123, v67
	v_mul_f16_e32 v123, 0x3722, v83
	v_fmamk_f16 v124, v50, 0xbb29, v123
	v_fmac_f16_e32 v123, 0x3b29, v50
	v_add_f16_e32 v128, v124, v122
	v_fmamk_f16 v122, v59, 0x39e9, v136
	v_fmamk_f16 v124, v52, 0x2de8, v129
	v_fma_f16 v129, v52, 0x2de8, -v129
	v_add_f16_e32 v122, v113, v122
	v_add_f16_e32 v58, v129, v58
	v_add_f16_e32 v122, v124, v122
	v_mul_f16_e32 v124, 0xba62, v141
	v_mul_f16_e32 v141, 0xbb29, v141
	v_fmamk_f16 v126, v53, 0xb8d2, v124
	v_add_f16_e32 v126, v126, v122
	v_mul_f16_e32 v122, 0xb1e1, v182
	v_fmamk_f16 v130, v61, 0xbbdd, v122
	v_add_f16_e32 v126, v130, v126
	v_fmamk_f16 v130, v51, 0xbacd, v125
	v_add_f16_e32 v131, v130, v126
	v_mul_f16_e32 v130, 0x3722, v121
	v_mul_f16_e32 v126, 0x3bb2, v190
	v_fmamk_f16 v121, v55, 0x3b29, v130
	v_fmac_f16_e32 v130, 0xbb29, v55
	v_fma_f16 v55, v53, 0xb8d2, -v124
	v_add_f16_e32 v110, v121, v110
	v_fmamk_f16 v121, v48, 0xb461, v126
	v_add_f16_e32 v55, v55, v58
	v_fma_f16 v58, v61, 0xbbdd, -v122
	v_add_f16_e32 v121, v121, v131
	v_mul_f16_e32 v131, 0x2de8, v127
	v_fmamk_f16 v127, v54, 0x3bf7, v131
	v_fmac_f16_e32 v131, 0xbbf7, v54
	v_add_f16_e32 v54, v58, v55
	v_fma_f16 v55, v51, 0xbacd, -v125
	v_add_f16_e32 v110, v127, v110
	v_mul_f16_e32 v127, 0x3b29, v196
	v_add_f16_e32 v54, v55, v54
	v_fma_f16 v55, v48, 0xb461, -v126
	v_fmamk_f16 v132, v26, 0x3722, v127
	v_add_f16_e32 v145, v132, v121
	v_mul_f16_e32 v132, 0xb461, v68
	v_mul_f16_e32 v121, 0x3b76, v193
	v_fmamk_f16 v68, v57, 0x3bb2, v132
	v_fmac_f16_e32 v132, 0xbbb2, v57
	v_add_f16_e32 v245, v68, v110
	v_fmamk_f16 v68, v27, 0xb5c8, v121
	v_fmac_f16_e32 v121, 0x35c8, v27
	v_add_f16_e32 v71, v71, v245
	v_add_f16_e32 v68, v68, v128
	v_mul_f16_e32 v128, 0x35c8, v201
	v_fmamk_f16 v110, v29, 0x3b76, v128
	v_add_f16_e32 v110, v110, v145
	v_mul_f16_e32 v145, 0xb5c8, v73
	v_fmamk_f16 v73, v59, 0x3b76, v145
	v_add_f16_e32 v73, v113, v73
	v_add_f16_e32 v73, v78, v73
	;; [unrolled: 1-line block ×3, first 2 shown]
	v_mul_f16_e32 v117, 0xbacd, v83
	v_mul_f16_e32 v120, 0xb1e1, v201
	v_add_f16_e32 v78, v116, v78
	v_fmamk_f16 v83, v50, 0x3836, v117
	v_mul_f16_e32 v116, 0xbbf7, v182
	v_fmac_f16_e32 v117, 0xb836, v50
	v_add_f16_e32 v78, v115, v78
	v_add_f16_e32 v71, v83, v71
	v_fmamk_f16 v83, v53, 0x3722, v141
	v_mul_f16_e32 v115, 0xbbb2, v183
	v_add_f16_e32 v78, v100, v78
	v_add_f16_e32 v73, v83, v73
	v_fmamk_f16 v83, v61, 0x2de8, v116
	v_add_f16_e32 v78, v103, v78
	v_mul_f16_e32 v103, 0xbbdd, v193
	v_add_f16_e32 v73, v83, v73
	v_fmamk_f16 v83, v51, 0xb461, v115
	v_add_f16_e32 v73, v83, v73
	v_fmamk_f16 v83, v27, 0x31e1, v103
	v_fmac_f16_e32 v103, 0xb1e1, v27
	v_add_f16_e32 v100, v83, v71
	v_add_f16_e32 v71, v102, v78
	v_mul_f16_e32 v102, 0xba62, v190
	v_fmamk_f16 v83, v29, 0xbbdd, v120
	v_add_f16_e32 v71, v101, v71
	v_fmamk_f16 v78, v48, 0xb8d2, v102
	v_mul_f16_e32 v101, 0xb836, v196
	v_add_f16_e32 v71, v99, v71
	v_add_f16_e32 v73, v78, v73
	v_fmamk_f16 v78, v26, 0xbacd, v101
	v_add_f16_e32 v71, v98, v71
	v_fma_f16 v98, v51, 0x2de8, -v226
	v_add_f16_e32 v73, v78, v73
	v_add_f16_e32 v78, v114, v180
	;; [unrolled: 1-line block ×3, first 2 shown]
	v_fma_f16 v97, v52, 0xb461, -v221
	v_add_f16_e32 v99, v83, v73
	v_add_f16_e32 v78, v179, v78
	v_fma_f16 v83, v52, 0x3b76, -v185
	v_add_f16_e32 v71, v96, v71
	v_fma_f16 v96, v29, 0x2de8, -v202
	;; [unrolled: 2-line block ×3, first 2 shown]
	v_add_f16_e32 v71, v95, v71
	v_add_f16_e32 v73, v175, v73
	v_add_f16_e32 v78, v113, v78
	v_add_f16_sdwa v47, v47, v71 dst_sel:DWORD dst_unused:UNUSED_PAD src0_sel:WORD_1 src1_sel:DWORD
	v_add_f16_e32 v73, v171, v73
	v_add_f16_e32 v78, v83, v78
	v_fma_f16 v83, v53, 0xbacd, -v186
	v_fma_f16 v171, v52, 0xbbdd, -v244
	v_pack_b32_f16 v24, v24, v47
	v_add_f16_e32 v73, v161, v73
	v_fma_f16 v161, v52, 0xbacd, -v236
	v_add_f16_e32 v78, v83, v78
	v_fma_f16 v83, v61, 0x39e9, -v187
	v_pack_b32_f16 v47, v67, v66
	v_add_f16_e32 v71, v166, v73
	v_fma_f16 v73, v51, 0xb8d2, -v188
	v_fma_f16 v166, v48, 0x2de8, -v242
	v_add_f16_e32 v78, v83, v78
	v_fma_f16 v83, v48, 0x3722, -v192
	v_add_f16_e32 v95, v195, v71
	;; [unrolled: 2-line block ×3, first 2 shown]
	v_add_f16_e32 v78, v114, v189
	v_add_f16_e32 v73, v83, v73
	;; [unrolled: 1-line block ×3, first 2 shown]
	v_fma_f16 v83, v52, 0x3722, -v205
	v_fma_f16 v52, v52, 0x39e9, -v118
	v_add_f16_e32 v71, v71, v73
	v_add_f16_e32 v78, v194, v78
	;; [unrolled: 1-line block ×4, first 2 shown]
	v_fma_f16 v78, v59, 0xbacd, -v204
	v_fma_f16 v96, v51, 0x3b76, -v210
	v_add_f16_e32 v73, v199, v73
	v_add_f16_e32 v78, v113, v78
	;; [unrolled: 1-line block ×4, first 2 shown]
	v_fma_f16 v83, v53, 0x2de8, -v206
	v_add_f16_e32 v73, v203, v73
	v_add_f16_e32 v78, v83, v78
	v_fma_f16 v83, v61, 0xb8d2, -v207
	v_add_f16_e32 v73, v213, v73
	v_add_f16_e32 v78, v83, v78
	;; [unrolled: 1-line block ×4, first 2 shown]
	v_fma_f16 v96, v48, 0xbbdd, -v212
	v_add_f16_e32 v83, v209, v83
	v_add_f16_e32 v78, v96, v78
	v_fma_f16 v96, v26, 0x39e9, -v215
	v_add_f16_e32 v83, v211, v83
	v_add_f16_e32 v78, v96, v78
	;; [unrolled: 3-line block ×3, first 2 shown]
	v_add_f16_e32 v83, v216, v83
	v_add_f16_e32 v96, v97, v96
	v_fma_f16 v97, v53, 0x3b76, -v222
	v_add_f16_e32 v83, v217, v83
	v_add_f16_e32 v96, v97, v96
	v_fma_f16 v97, v29, 0xb461, -v218
	v_add_f16_e32 v83, v219, v83
	v_add_f16_e32 v78, v97, v78
	v_fma_f16 v97, v61, 0xbacd, -v223
	v_add_f16_e32 v83, v229, v83
	v_pack_b32_f16 v28, v78, v73
	v_add_f16_e32 v96, v97, v96
	v_add_f16_e32 v97, v114, v224
	;; [unrolled: 1-line block ×3, first 2 shown]
	v_fma_f16 v98, v48, 0x39e9, -v228
	v_add_f16_e32 v97, v225, v97
	v_add_f16_e32 v96, v98, v96
	v_fma_f16 v98, v59, 0xb461, -v235
	v_add_f16_e32 v97, v227, v97
	v_add_f16_e32 v98, v113, v98
	;; [unrolled: 1-line block ×4, first 2 shown]
	v_fma_f16 v161, v26, 0xbbdd, -v231
	v_add_f16_e32 v97, v232, v97
	v_add_f16_e32 v96, v161, v96
	v_fma_f16 v161, v53, 0x39e9, -v237
	v_add_f16_e32 v97, v233, v97
	v_add_f16_e32 v98, v161, v98
	;; [unrolled: 3-line block ×5, first 2 shown]
	v_add_f16_e32 v98, v166, v98
	v_add_f16_e32 v161, v240, v161
	v_fma_f16 v166, v26, 0x3b76, -v178
	v_add_f16_e32 v161, v172, v161
	v_add_f16_e32 v98, v166, v98
	v_fma_f16 v166, v59, 0x2de8, -v243
	v_fma_f16 v59, v59, 0x3b76, -v145
	v_add_f16_e32 v161, v173, v161
	v_add_f16_e32 v98, v150, v98
	;; [unrolled: 1-line block ×5, first 2 shown]
	v_fma_f16 v162, v53, 0xb461, -v174
	v_add_f16_e32 v166, v171, v166
	v_add_f16_e32 v52, v52, v59
	v_fma_f16 v53, v53, 0x3722, -v141
	v_add_f16_e32 v160, v160, v161
	v_fma_f16 v161, v61, 0x3b76, -v170
	v_add_f16_e32 v162, v162, v166
	v_add_f16_e32 v52, v53, v52
	;; [unrolled: 1-line block ×3, first 2 shown]
	v_fma_f16 v160, v51, 0x3722, -v167
	v_add_f16_e32 v161, v161, v162
	v_add_f16_e32 v162, v114, v168
	;; [unrolled: 1-line block ×4, first 2 shown]
	v_fma_f16 v156, v48, 0xbacd, -v163
	v_add_f16_e32 v160, v160, v161
	v_add_f16_e32 v162, v169, v162
	;; [unrolled: 1-line block ×3, first 2 shown]
	v_fma_f16 v53, v61, 0x2de8, -v116
	v_add_f16_e32 v156, v156, v160
	v_add_f16_e32 v161, v165, v162
	;; [unrolled: 1-line block ×8, first 2 shown]
	v_fma_f16 v54, v26, 0x3722, -v127
	v_fma_f16 v26, v26, 0xbacd, -v101
	v_add_f16_e32 v135, v135, v140
	v_add_f16_e32 v148, v148, v159
	;; [unrolled: 1-line block ×3, first 2 shown]
	v_fma_f16 v140, v48, 0x3b76, -v144
	v_fma_f16 v48, v48, 0xb8d2, -v102
	v_add_f16_e32 v139, v139, v148
	v_add_f16_e32 v148, v154, v153
	;; [unrolled: 1-line block ×5, first 2 shown]
	v_fma_f16 v139, v51, 0x39e9, -v146
	v_fma_f16 v51, v51, 0xb461, -v115
	v_add_f16_e32 v138, v143, v138
	v_add_f16_e32 v146, v151, v148
	;; [unrolled: 1-line block ×5, first 2 shown]
	v_fma_f16 v52, v29, 0x3b76, -v128
	v_add_f16_e32 v60, v137, v146
	v_add_f16_e32 v139, v140, v139
	;; [unrolled: 1-line block ×8, first 2 shown]
	v_fma_f16 v27, v29, 0xbbdd, -v120
	v_add_f16_e32 v52, v103, v53
	v_lshl_add_u32 v29, v94, 2, v93
	v_pack_b32_f16 v53, v99, v100
	v_pack_b32_f16 v54, v110, v68
	;; [unrolled: 1-line block ×3, first 2 shown]
	v_add_f16_e32 v48, v69, v134
	v_add_f16_e32 v50, v121, v60
	;; [unrolled: 1-line block ×3, first 2 shown]
	ds_write2_b32 v29, v24, v53 offset1:1
	ds_write2_b32 v29, v54, v47 offset0:2 offset1:3
	ds_write2_b32 v29, v56, v55 offset0:4 offset1:5
	;; [unrolled: 1-line block ×3, first 2 shown]
	v_pack_b32_f16 v24, v71, v95
	v_pack_b32_f16 v27, v96, v83
	;; [unrolled: 1-line block ×7, first 2 shown]
	ds_write2_b32 v29, v25, v24 offset0:8 offset1:9
	ds_write2_b32 v29, v28, v27 offset0:10 offset1:11
	;; [unrolled: 1-line block ×4, first 2 shown]
	ds_write_b32 v29, v26 offset:64
.LBB0_13:
	s_or_b32 exec_lo, exec_lo, s0
	s_waitcnt lgkmcnt(0)
	s_barrier
	buffer_gl0_inv
	ds_read2_b32 v[25:26], v70 offset1:17
	ds_read2_b32 v[27:28], v70 offset0:136 offset1:153
	v_add_nc_u32_e32 v24, 0x400, v70
	ds_read2_b32 v[44:45], v70 offset0:34 offset1:51
	ds_read2_b32 v[46:47], v70 offset0:170 offset1:187
	;; [unrolled: 1-line block ×10, first 2 shown]
	s_waitcnt lgkmcnt(0)
	s_barrier
	buffer_gl0_inv
	s_mov_b32 s4, 0x14141414
	s_mov_b32 s5, 0x3f641414
	s_mul_hi_u32 s3, s8, 0xc0
	v_lshrrev_b32_e32 v67, 16, v44
	v_lshrrev_b32_e32 v68, 16, v46
	;; [unrolled: 1-line block ×7, first 2 shown]
	v_mul_f16_sdwa v114, v30, v27 dst_sel:DWORD dst_unused:UNUSED_PAD src0_sel:WORD_1 src1_sel:DWORD
	v_mul_f16_sdwa v116, v31, v71 dst_sel:DWORD dst_unused:UNUSED_PAD src0_sel:WORD_1 src1_sel:DWORD
	v_lshrrev_b32_e32 v83, 16, v47
	v_mul_f16_sdwa v110, v30, v64 dst_sel:DWORD dst_unused:UNUSED_PAD src0_sel:WORD_1 src1_sel:DWORD
	v_lshrrev_b32_e32 v93, 16, v51
	v_fma_f16 v64, v30, v64, -v114
	v_mul_f16_sdwa v114, v30, v66 dst_sel:DWORD dst_unused:UNUSED_PAD src0_sel:WORD_1 src1_sel:DWORD
	v_fmac_f16_e32 v116, v31, v48
	v_fmac_f16_e32 v110, v30, v27
	v_mul_f16_sdwa v27, v31, v48 dst_sel:DWORD dst_unused:UNUSED_PAD src0_sel:WORD_1 src1_sel:DWORD
	v_mul_f16_sdwa v48, v30, v28 dst_sel:DWORD dst_unused:UNUSED_PAD src0_sel:WORD_1 src1_sel:DWORD
	v_fmac_f16_e32 v114, v30, v28
	v_mul_f16_sdwa v28, v31, v49 dst_sel:DWORD dst_unused:UNUSED_PAD src0_sel:WORD_1 src1_sel:DWORD
	v_lshrrev_b32_e32 v95, 16, v54
	v_fma_f16 v27, v31, v71, -v27
	v_mul_f16_sdwa v71, v31, v73 dst_sel:DWORD dst_unused:UNUSED_PAD src0_sel:WORD_1 src1_sel:DWORD
	v_fma_f16 v30, v30, v66, -v48
	v_mul_f16_sdwa v48, v42, v68 dst_sel:DWORD dst_unused:UNUSED_PAD src0_sel:WORD_1 src1_sel:DWORD
	v_fma_f16 v28, v31, v73, -v28
	v_lshrrev_b32_e32 v96, 16, v56
	v_fmac_f16_e32 v71, v31, v49
	v_mul_f16_sdwa v49, v42, v46 dst_sel:DWORD dst_unused:UNUSED_PAD src0_sel:WORD_1 src1_sel:DWORD
	v_mul_f16_sdwa v31, v43, v78 dst_sel:DWORD dst_unused:UNUSED_PAD src0_sel:WORD_1 src1_sel:DWORD
	v_fmac_f16_e32 v48, v42, v46
	v_mul_f16_sdwa v46, v43, v50 dst_sel:DWORD dst_unused:UNUSED_PAD src0_sel:WORD_1 src1_sel:DWORD
	v_lshrrev_b32_e32 v98, 16, v55
	v_fma_f16 v42, v42, v68, -v49
	v_mul_f16_sdwa v49, v40, v83 dst_sel:DWORD dst_unused:UNUSED_PAD src0_sel:WORD_1 src1_sel:DWORD
	v_fmac_f16_e32 v31, v43, v50
	v_mul_f16_sdwa v50, v40, v47 dst_sel:DWORD dst_unused:UNUSED_PAD src0_sel:WORD_1 src1_sel:DWORD
	v_fma_f16 v43, v43, v78, -v46
	v_mul_f16_sdwa v46, v41, v93 dst_sel:DWORD dst_unused:UNUSED_PAD src0_sel:WORD_1 src1_sel:DWORD
	v_fmac_f16_e32 v49, v40, v47
	v_mul_f16_sdwa v47, v41, v51 dst_sel:DWORD dst_unused:UNUSED_PAD src0_sel:WORD_1 src1_sel:DWORD
	v_fma_f16 v40, v40, v83, -v50
	v_mul_f16_sdwa v50, v38, v95 dst_sel:DWORD dst_unused:UNUSED_PAD src0_sel:WORD_1 src1_sel:DWORD
	v_lshrrev_b32_e32 v99, 16, v57
	v_fmac_f16_e32 v46, v41, v51
	v_mul_f16_sdwa v51, v38, v54 dst_sel:DWORD dst_unused:UNUSED_PAD src0_sel:WORD_1 src1_sel:DWORD
	v_fma_f16 v41, v41, v93, -v47
	v_mul_f16_sdwa v47, v39, v96 dst_sel:DWORD dst_unused:UNUSED_PAD src0_sel:WORD_1 src1_sel:DWORD
	v_fmac_f16_e32 v50, v38, v54
	v_mul_f16_sdwa v54, v39, v56 dst_sel:DWORD dst_unused:UNUSED_PAD src0_sel:WORD_1 src1_sel:DWORD
	v_lshrrev_b32_e32 v101, 16, v60
	v_fma_f16 v38, v38, v95, -v51
	v_mul_f16_sdwa v51, v36, v98 dst_sel:DWORD dst_unused:UNUSED_PAD src0_sel:WORD_1 src1_sel:DWORD
	v_fmac_f16_e32 v47, v39, v56
	v_mul_f16_sdwa v56, v36, v55 dst_sel:DWORD dst_unused:UNUSED_PAD src0_sel:WORD_1 src1_sel:DWORD
	v_fma_f16 v39, v39, v96, -v54
	v_mul_f16_sdwa v54, v37, v99 dst_sel:DWORD dst_unused:UNUSED_PAD src0_sel:WORD_1 src1_sel:DWORD
	v_lshrrev_b32_e32 v102, 16, v62
	v_lshrrev_b32_e32 v113, 16, v61
	v_fmac_f16_e32 v51, v36, v55
	v_mul_f16_sdwa v55, v37, v57 dst_sel:DWORD dst_unused:UNUSED_PAD src0_sel:WORD_1 src1_sel:DWORD
	v_fma_f16 v36, v36, v98, -v56
	v_mul_f16_sdwa v56, v34, v101 dst_sel:DWORD dst_unused:UNUSED_PAD src0_sel:WORD_1 src1_sel:DWORD
	v_fmac_f16_e32 v54, v37, v57
	v_mul_f16_sdwa v57, v34, v60 dst_sel:DWORD dst_unused:UNUSED_PAD src0_sel:WORD_1 src1_sel:DWORD
	v_lshrrev_b32_e32 v115, 16, v63
	v_fma_f16 v37, v37, v99, -v55
	v_mul_f16_sdwa v55, v35, v102 dst_sel:DWORD dst_unused:UNUSED_PAD src0_sel:WORD_1 src1_sel:DWORD
	v_fmac_f16_e32 v56, v34, v60
	v_mul_f16_sdwa v60, v35, v62 dst_sel:DWORD dst_unused:UNUSED_PAD src0_sel:WORD_1 src1_sel:DWORD
	v_fma_f16 v34, v34, v101, -v57
	v_mul_f16_sdwa v57, v32, v113 dst_sel:DWORD dst_unused:UNUSED_PAD src0_sel:WORD_1 src1_sel:DWORD
	v_fmac_f16_e32 v55, v35, v62
	v_mul_f16_sdwa v62, v32, v61 dst_sel:DWORD dst_unused:UNUSED_PAD src0_sel:WORD_1 src1_sel:DWORD
	;; [unrolled: 4-line block ×3, first 2 shown]
	v_lshrrev_b32_e32 v29, 16, v25
	v_fma_f16 v32, v32, v113, -v62
	v_add_f16_e32 v62, v110, v116
	v_fmac_f16_e32 v60, v33, v63
	v_fma_f16 v33, v33, v115, -v61
	v_add_f16_e32 v61, v64, v27
	v_add_f16_e32 v63, v25, v110
	v_fma_f16 v25, -0.5, v62, v25
	v_sub_f16_e32 v62, v64, v27
	v_add_f16_e32 v64, v29, v64
	v_fmac_f16_e32 v29, -0.5, v61
	v_sub_f16_e32 v61, v110, v116
	v_lshrrev_b32_e32 v65, 16, v26
	v_fmamk_f16 v66, v62, 0xbaee, v25
	v_fmac_f16_e32 v25, 0x3aee, v62
	v_add_f16_e32 v27, v64, v27
	v_add_f16_e32 v62, v114, v71
	v_fmamk_f16 v64, v61, 0x3aee, v29
	v_fmac_f16_e32 v29, 0xbaee, v61
	v_add_f16_e32 v61, v30, v28
	v_add_f16_e32 v68, v26, v114
	v_fmac_f16_e32 v26, -0.5, v62
	v_sub_f16_e32 v62, v30, v28
	v_add_f16_e32 v30, v65, v30
	v_fmac_f16_e32 v65, -0.5, v61
	v_sub_f16_e32 v61, v114, v71
	v_add_f16_e32 v68, v68, v71
	v_fmamk_f16 v71, v62, 0xbaee, v26
	v_fmac_f16_e32 v26, 0x3aee, v62
	v_add_f16_e32 v28, v30, v28
	v_add_f16_e32 v30, v48, v31
	v_fmamk_f16 v62, v61, 0x3aee, v65
	v_add_f16_e32 v73, v44, v48
	v_fmac_f16_e32 v65, 0xbaee, v61
	v_add_f16_e32 v61, v42, v43
	v_fma_f16 v30, -0.5, v30, v44
	v_sub_f16_e32 v44, v42, v43
	v_add_f16_e32 v73, v73, v31
	v_add_f16_e32 v42, v67, v42
	v_fmac_f16_e32 v67, -0.5, v61
	v_sub_f16_e32 v31, v48, v31
	v_lshrrev_b32_e32 v69, 16, v45
	v_fmamk_f16 v48, v44, 0xbaee, v30
	v_fmac_f16_e32 v30, 0x3aee, v44
	v_add_f16_e32 v42, v42, v43
	v_add_f16_e32 v43, v49, v46
	v_fmamk_f16 v44, v31, 0x3aee, v67
	v_fmac_f16_e32 v67, 0xbaee, v31
	v_add_f16_e32 v31, v40, v41
	v_add_f16_e32 v61, v45, v49
	v_fmac_f16_e32 v45, -0.5, v43
	v_sub_f16_e32 v43, v40, v41
	v_add_f16_e32 v40, v69, v40
	v_fmac_f16_e32 v69, -0.5, v31
	v_sub_f16_e32 v31, v49, v46
	v_lshrrev_b32_e32 v94, 16, v52
	v_add_f16_e32 v61, v61, v46
	v_fmamk_f16 v46, v43, 0xbaee, v45
	v_fmac_f16_e32 v45, 0x3aee, v43
	v_add_f16_e32 v40, v40, v41
	v_add_f16_e32 v41, v50, v47
	v_fmamk_f16 v43, v31, 0x3aee, v69
	v_fmac_f16_e32 v69, 0xbaee, v31
	v_add_f16_e32 v31, v38, v39
	v_add_f16_e32 v49, v52, v50
	v_fma_f16 v41, -0.5, v41, v52
	v_sub_f16_e32 v52, v38, v39
	v_add_f16_e32 v38, v94, v38
	v_fmac_f16_e32 v94, -0.5, v31
	v_sub_f16_e32 v31, v50, v47
	v_lshrrev_b32_e32 v97, 16, v53
	v_add_f16_e32 v49, v49, v47
	v_add_f16_e32 v38, v38, v39
	;; [unrolled: 1-line block ×3, first 2 shown]
	v_fmamk_f16 v50, v31, 0x3aee, v94
	v_fmac_f16_e32 v94, 0xbaee, v31
	v_add_f16_e32 v31, v36, v37
	v_fmamk_f16 v47, v52, 0xbaee, v41
	v_fmac_f16_e32 v41, 0x3aee, v52
	v_add_f16_e32 v52, v53, v51
	v_fmac_f16_e32 v53, -0.5, v39
	v_sub_f16_e32 v39, v36, v37
	v_add_f16_e32 v36, v97, v36
	v_fmac_f16_e32 v97, -0.5, v31
	v_sub_f16_e32 v31, v51, v54
	v_lshrrev_b32_e32 v100, 16, v58
	v_fmamk_f16 v51, v39, 0xbaee, v53
	v_fmac_f16_e32 v53, 0x3aee, v39
	v_add_f16_e32 v36, v36, v37
	v_add_f16_e32 v37, v56, v55
	v_fmamk_f16 v39, v31, 0x3aee, v97
	v_fmac_f16_e32 v97, 0xbaee, v31
	v_add_f16_e32 v31, v34, v35
	v_add_f16_e32 v52, v52, v54
	;; [unrolled: 1-line block ×3, first 2 shown]
	v_fma_f16 v37, -0.5, v37, v58
	v_sub_f16_e32 v58, v34, v35
	v_add_f16_e32 v34, v100, v34
	v_fmac_f16_e32 v100, -0.5, v31
	v_sub_f16_e32 v31, v56, v55
	v_lshrrev_b32_e32 v103, 16, v59
	v_add_f16_e32 v63, v63, v116
	v_add_f16_e32 v34, v34, v35
	;; [unrolled: 1-line block ×3, first 2 shown]
	v_fmamk_f16 v56, v31, 0x3aee, v100
	v_fmac_f16_e32 v100, 0xbaee, v31
	v_add_f16_e32 v31, v32, v33
	v_add_f16_e32 v54, v54, v55
	v_fmamk_f16 v55, v58, 0xbaee, v37
	v_fmac_f16_e32 v37, 0x3aee, v58
	v_add_f16_e32 v58, v59, v57
	v_fmac_f16_e32 v59, -0.5, v35
	v_sub_f16_e32 v35, v32, v33
	v_add_f16_e32 v32, v103, v32
	v_fmac_f16_e32 v103, -0.5, v31
	v_sub_f16_e32 v31, v57, v60
	v_pack_b32_f16 v27, v63, v27
	v_pack_b32_f16 v25, v25, v29
	v_add_f16_e32 v32, v32, v33
	v_pack_b32_f16 v28, v68, v28
	v_fmamk_f16 v33, v31, 0x3aee, v103
	v_fmac_f16_e32 v103, 0xbaee, v31
	v_pack_b32_f16 v31, v66, v64
	v_pack_b32_f16 v29, v71, v62
	;; [unrolled: 1-line block ×3, first 2 shown]
	v_add_f16_e32 v57, v58, v60
	v_fmamk_f16 v58, v35, 0xbaee, v59
	v_fmac_f16_e32 v59, 0x3aee, v35
	v_pack_b32_f16 v35, v73, v42
	v_pack_b32_f16 v42, v48, v44
	;; [unrolled: 1-line block ×3, first 2 shown]
	ds_write2_b32 v70, v27, v31 offset1:17
	ds_write2_b32 v70, v25, v28 offset0:34 offset1:51
	ds_write2_b32 v70, v29, v26 offset0:68 offset1:85
	;; [unrolled: 1-line block ×3, first 2 shown]
	ds_write_b32 v109, v30 offset:544
	v_pack_b32_f16 v25, v61, v40
	v_pack_b32_f16 v26, v46, v43
	;; [unrolled: 1-line block ×8, first 2 shown]
	v_add_nc_u32_e32 v36, 0x200, v106
	ds_write2_b32 v108, v25, v26 offset0:153 offset1:170
	ds_write_b32 v108, v27 offset:748
	ds_write2_b32 v107, v28, v29 offset0:204 offset1:221
	ds_write_b32 v107, v30 offset:952
	ds_write2_b32 v36, v31, v35 offset0:127 offset1:144
	v_pack_b32_f16 v25, v53, v97
	v_pack_b32_f16 v26, v54, v34
	;; [unrolled: 1-line block ×3, first 2 shown]
	v_add_nc_u32_e32 v28, 0x400, v105
	v_pack_b32_f16 v29, v37, v100
	v_pack_b32_f16 v30, v57, v32
	;; [unrolled: 1-line block ×3, first 2 shown]
	v_add_nc_u32_e32 v32, 0x400, v104
	v_pack_b32_f16 v33, v59, v103
	ds_write_b32 v106, v25 offset:1156
	ds_write2_b32 v28, v26, v27 offset0:50 offset1:67
	ds_write_b32 v105, v29 offset:1360
	ds_write2_b32 v32, v30, v31 offset0:101 offset1:118
	ds_write_b32 v104, v33 offset:1564
	s_waitcnt lgkmcnt(0)
	s_barrier
	buffer_gl0_inv
	ds_read2_b32 v[25:26], v70 offset1:17
	ds_read2_b32 v[27:28], v70 offset0:34 offset1:51
	ds_read2_b32 v[29:30], v70 offset0:102 offset1:119
	;; [unrolled: 1-line block ×11, first 2 shown]
	s_waitcnt lgkmcnt(11)
	v_lshrrev_b32_e32 v49, 16, v25
	s_waitcnt lgkmcnt(10)
	v_lshrrev_b32_e32 v50, 16, v28
	;; [unrolled: 2-line block ×4, first 2 shown]
	v_mul_f16_sdwa v83, v8, v28 dst_sel:DWORD dst_unused:UNUSED_PAD src0_sel:WORD_1 src1_sel:DWORD
	s_waitcnt lgkmcnt(7)
	v_lshrrev_b32_e32 v53, 16, v33
	v_mul_f16_sdwa v71, v8, v50 dst_sel:DWORD dst_unused:UNUSED_PAD src0_sel:WORD_1 src1_sel:DWORD
	s_waitcnt lgkmcnt(6)
	v_lshrrev_b32_e32 v54, 16, v36
	s_waitcnt lgkmcnt(5)
	v_lshrrev_b32_e32 v55, 16, v37
	v_mul_f16_sdwa v94, v9, v29 dst_sel:DWORD dst_unused:UNUSED_PAD src0_sel:WORD_1 src1_sel:DWORD
	s_waitcnt lgkmcnt(4)
	v_lshrrev_b32_e32 v56, 16, v40
	v_fmac_f16_e32 v71, v8, v28
	v_mul_f16_sdwa v28, v9, v51 dst_sel:DWORD dst_unused:UNUSED_PAD src0_sel:WORD_1 src1_sel:DWORD
	v_fma_f16 v8, v8, v50, -v83
	v_mul_f16_sdwa v50, v10, v52 dst_sel:DWORD dst_unused:UNUSED_PAD src0_sel:WORD_1 src1_sel:DWORD
	v_mul_f16_sdwa v83, v10, v32 dst_sel:DWORD dst_unused:UNUSED_PAD src0_sel:WORD_1 src1_sel:DWORD
	s_waitcnt lgkmcnt(3)
	v_lshrrev_b32_e32 v58, 16, v41
	v_fmac_f16_e32 v28, v9, v29
	v_mul_f16_sdwa v29, v11, v53 dst_sel:DWORD dst_unused:UNUSED_PAD src0_sel:WORD_1 src1_sel:DWORD
	v_fmac_f16_e32 v50, v10, v32
	v_mul_f16_sdwa v32, v11, v33 dst_sel:DWORD dst_unused:UNUSED_PAD src0_sel:WORD_1 src1_sel:DWORD
	v_fma_f16 v9, v9, v51, -v94
	v_fma_f16 v10, v10, v52, -v83
	v_mul_f16_sdwa v51, v18, v54 dst_sel:DWORD dst_unused:UNUSED_PAD src0_sel:WORD_1 src1_sel:DWORD
	v_fmac_f16_e32 v29, v11, v33
	v_mul_f16_sdwa v33, v18, v36 dst_sel:DWORD dst_unused:UNUSED_PAD src0_sel:WORD_1 src1_sel:DWORD
	v_mul_f16_sdwa v52, v19, v55 dst_sel:DWORD dst_unused:UNUSED_PAD src0_sel:WORD_1 src1_sel:DWORD
	v_fma_f16 v11, v11, v53, -v32
	v_mul_f16_sdwa v32, v19, v37 dst_sel:DWORD dst_unused:UNUSED_PAD src0_sel:WORD_1 src1_sel:DWORD
	v_lshrrev_b32_e32 v59, 16, v30
	v_fmac_f16_e32 v51, v18, v36
	v_fma_f16 v18, v18, v54, -v33
	v_fmac_f16_e32 v52, v19, v37
	v_mul_f16_sdwa v33, v20, v56 dst_sel:DWORD dst_unused:UNUSED_PAD src0_sel:WORD_1 src1_sel:DWORD
	v_mul_f16_sdwa v36, v20, v40 dst_sel:DWORD dst_unused:UNUSED_PAD src0_sel:WORD_1 src1_sel:DWORD
	v_fma_f16 v19, v19, v55, -v32
	v_mul_f16_sdwa v32, v4, v58 dst_sel:DWORD dst_unused:UNUSED_PAD src0_sel:WORD_1 src1_sel:DWORD
	v_mul_f16_sdwa v37, v4, v41 dst_sel:DWORD dst_unused:UNUSED_PAD src0_sel:WORD_1 src1_sel:DWORD
	s_waitcnt lgkmcnt(2)
	v_lshrrev_b32_e32 v60, 16, v43
	v_lshrrev_b32_e32 v61, 16, v34
	v_fmac_f16_e32 v33, v20, v40
	v_fma_f16 v20, v20, v56, -v36
	v_mul_f16_sdwa v36, v5, v59 dst_sel:DWORD dst_unused:UNUSED_PAD src0_sel:WORD_1 src1_sel:DWORD
	v_fmac_f16_e32 v32, v4, v41
	v_fma_f16 v4, v4, v58, -v37
	v_mul_f16_sdwa v37, v5, v30 dst_sel:DWORD dst_unused:UNUSED_PAD src0_sel:WORD_1 src1_sel:DWORD
	s_waitcnt lgkmcnt(1)
	v_lshrrev_b32_e32 v62, 16, v45
	v_lshrrev_b32_e32 v63, 16, v38
	v_mul_f16_sdwa v40, v6, v60 dst_sel:DWORD dst_unused:UNUSED_PAD src0_sel:WORD_1 src1_sel:DWORD
	v_fmac_f16_e32 v36, v5, v30
	v_mul_f16_sdwa v30, v6, v43 dst_sel:DWORD dst_unused:UNUSED_PAD src0_sel:WORD_1 src1_sel:DWORD
	v_mul_f16_sdwa v41, v7, v61 dst_sel:DWORD dst_unused:UNUSED_PAD src0_sel:WORD_1 src1_sel:DWORD
	v_fma_f16 v5, v5, v59, -v37
	v_mul_f16_sdwa v37, v7, v34 dst_sel:DWORD dst_unused:UNUSED_PAD src0_sel:WORD_1 src1_sel:DWORD
	s_waitcnt lgkmcnt(0)
	v_lshrrev_b32_e32 v64, 16, v47
	v_fmac_f16_e32 v40, v6, v43
	v_fma_f16 v6, v6, v60, -v30
	v_fmac_f16_e32 v41, v7, v34
	v_mul_f16_sdwa v30, v15, v62 dst_sel:DWORD dst_unused:UNUSED_PAD src0_sel:WORD_1 src1_sel:DWORD
	v_mul_f16_sdwa v34, v15, v45 dst_sel:DWORD dst_unused:UNUSED_PAD src0_sel:WORD_1 src1_sel:DWORD
	v_fma_f16 v7, v7, v61, -v37
	v_mul_f16_sdwa v37, v16, v63 dst_sel:DWORD dst_unused:UNUSED_PAD src0_sel:WORD_1 src1_sel:DWORD
	v_lshrrev_b32_e32 v66, 16, v42
	v_lshrrev_b32_e32 v67, 16, v31
	v_mul_f16_sdwa v43, v16, v38 dst_sel:DWORD dst_unused:UNUSED_PAD src0_sel:WORD_1 src1_sel:DWORD
	v_fmac_f16_e32 v30, v15, v45
	v_fma_f16 v15, v15, v62, -v34
	v_mul_f16_sdwa v34, v17, v64 dst_sel:DWORD dst_unused:UNUSED_PAD src0_sel:WORD_1 src1_sel:DWORD
	v_fmac_f16_e32 v37, v16, v38
	v_mul_f16_sdwa v38, v17, v47 dst_sel:DWORD dst_unused:UNUSED_PAD src0_sel:WORD_1 src1_sel:DWORD
	v_lshrrev_b32_e32 v68, 16, v44
	v_lshrrev_b32_e32 v69, 16, v35
	v_fma_f16 v16, v16, v63, -v43
	v_mul_f16_sdwa v43, v0, v66 dst_sel:DWORD dst_unused:UNUSED_PAD src0_sel:WORD_1 src1_sel:DWORD
	v_fmac_f16_e32 v34, v17, v47
	v_mul_f16_sdwa v47, v1, v67 dst_sel:DWORD dst_unused:UNUSED_PAD src0_sel:WORD_1 src1_sel:DWORD
	v_fma_f16 v17, v17, v64, -v38
	v_mul_f16_sdwa v38, v1, v31 dst_sel:DWORD dst_unused:UNUSED_PAD src0_sel:WORD_1 src1_sel:DWORD
	v_lshrrev_b32_e32 v73, 16, v46
	v_lshrrev_b32_e32 v78, 16, v39
	v_mul_f16_sdwa v45, v0, v42 dst_sel:DWORD dst_unused:UNUSED_PAD src0_sel:WORD_1 src1_sel:DWORD
	v_fmac_f16_e32 v43, v0, v42
	v_fmac_f16_e32 v47, v1, v31
	v_mul_f16_sdwa v31, v2, v68 dst_sel:DWORD dst_unused:UNUSED_PAD src0_sel:WORD_1 src1_sel:DWORD
	v_mul_f16_sdwa v42, v2, v44 dst_sel:DWORD dst_unused:UNUSED_PAD src0_sel:WORD_1 src1_sel:DWORD
	v_fma_f16 v1, v1, v67, -v38
	v_mul_f16_sdwa v38, v3, v69 dst_sel:DWORD dst_unused:UNUSED_PAD src0_sel:WORD_1 src1_sel:DWORD
	v_fma_f16 v0, v0, v66, -v45
	v_mul_f16_sdwa v45, v3, v35 dst_sel:DWORD dst_unused:UNUSED_PAD src0_sel:WORD_1 src1_sel:DWORD
	v_fmac_f16_e32 v31, v2, v44
	v_fma_f16 v2, v2, v68, -v42
	v_mul_f16_sdwa v42, v12, v73 dst_sel:DWORD dst_unused:UNUSED_PAD src0_sel:WORD_1 src1_sel:DWORD
	v_fmac_f16_e32 v38, v3, v35
	v_mul_f16_sdwa v35, v12, v46 dst_sel:DWORD dst_unused:UNUSED_PAD src0_sel:WORD_1 src1_sel:DWORD
	v_mul_f16_sdwa v44, v13, v78 dst_sel:DWORD dst_unused:UNUSED_PAD src0_sel:WORD_1 src1_sel:DWORD
	v_fma_f16 v3, v3, v69, -v45
	v_fmac_f16_e32 v42, v12, v46
	v_mul_f16_sdwa v45, v13, v39 dst_sel:DWORD dst_unused:UNUSED_PAD src0_sel:WORD_1 src1_sel:DWORD
	v_fma_f16 v12, v12, v73, -v35
	v_fmac_f16_e32 v44, v13, v39
	v_sub_f16_e32 v29, v25, v29
	v_sub_f16_e32 v11, v49, v11
	;; [unrolled: 1-line block ×8, first 2 shown]
	v_fma_f16 v13, v13, v78, -v45
	v_fma_f16 v25, v25, 2.0, -v29
	v_fma_f16 v45, v49, 2.0, -v11
	;; [unrolled: 1-line block ×8, first 2 shown]
	v_lshrrev_b32_e32 v93, 16, v48
	v_sub_f16_e32 v28, v25, v28
	v_sub_f16_e32 v9, v45, v9
	v_add_f16_e32 v19, v29, v19
	v_add_f16_e32 v20, v39, v20
	v_sub_f16_e32 v50, v49, v50
	v_sub_f16_e32 v10, v8, v10
	v_mul_f16_sdwa v46, v14, v93 dst_sel:DWORD dst_unused:UNUSED_PAD src0_sel:WORD_1 src1_sel:DWORD
	v_fma_f16 v25, v25, 2.0, -v28
	v_fma_f16 v45, v45, 2.0, -v9
	v_sub_f16_e32 v35, v11, v35
	v_fma_f16 v29, v29, 2.0, -v19
	v_sub_f16_e32 v33, v18, v33
	v_fma_f16 v39, v39, 2.0, -v20
	v_fma_f16 v49, v49, 2.0, -v50
	;; [unrolled: 1-line block ×3, first 2 shown]
	v_lshrrev_b32_e32 v57, 16, v26
	v_fmac_f16_e32 v46, v14, v48
	v_fma_f16 v11, v11, 2.0, -v35
	v_fma_f16 v18, v18, 2.0, -v33
	v_fmamk_f16 v51, v39, 0xb9a8, v29
	v_mul_f16_sdwa v48, v14, v48 dst_sel:DWORD dst_unused:UNUSED_PAD src0_sel:WORD_1 src1_sel:DWORD
	v_sub_f16_e32 v49, v25, v49
	v_sub_f16_e32 v8, v45, v8
	v_fmamk_f16 v52, v18, 0xb9a8, v11
	v_fmac_f16_e32 v51, 0x39a8, v18
	v_fma_f16 v14, v14, v93, -v48
	v_fma_f16 v18, v25, 2.0, -v49
	v_fma_f16 v25, v45, 2.0, -v8
	v_fmamk_f16 v45, v20, 0x39a8, v19
	v_fmamk_f16 v48, v33, 0x39a8, v35
	v_sub_f16_e32 v41, v26, v41
	v_sub_f16_e32 v7, v57, v7
	;; [unrolled: 1-line block ×6, first 2 shown]
	v_fmac_f16_e32 v45, 0x39a8, v33
	v_fmac_f16_e32 v48, 0xb9a8, v20
	v_sub_f16_e32 v20, v36, v37
	v_fma_f16 v33, v57, 2.0, -v7
	v_fma_f16 v5, v5, 2.0, -v16
	v_sub_f16_e32 v34, v40, v34
	v_fma_f16 v4, v4, 2.0, -v15
	v_fma_f16 v6, v6, 2.0, -v17
	v_add_f16_e32 v16, v41, v16
	v_add_f16_e32 v17, v30, v17
	v_fma_f16 v36, v36, 2.0, -v20
	v_fma_f16 v32, v32, 2.0, -v30
	v_sub_f16_e32 v5, v33, v5
	v_fma_f16 v37, v40, 2.0, -v34
	v_sub_f16_e32 v20, v7, v20
	;; [unrolled: 2-line block ×3, first 2 shown]
	v_sub_f16_e32 v6, v4, v6
	v_fma_f16 v30, v30, 2.0, -v17
	v_fma_f16 v26, v26, 2.0, -v41
	;; [unrolled: 1-line block ×6, first 2 shown]
	v_fmamk_f16 v41, v30, 0xb9a8, v40
	v_lshrrev_b32_e32 v65, 16, v27
	v_fmac_f16_e32 v52, 0xb9a8, v39
	v_sub_f16_e32 v39, v9, v50
	v_sub_f16_e32 v37, v32, v37
	v_fmamk_f16 v50, v15, 0xb9a8, v7
	v_sub_f16_e32 v4, v33, v4
	v_fmac_f16_e32 v41, 0x39a8, v15
	v_fma_f16 v15, v35, 2.0, -v48
	v_fma_f16 v32, v32, 2.0, -v37
	v_fmac_f16_e32 v50, 0xb9a8, v30
	v_fma_f16 v30, v33, 2.0, -v4
	v_fma_f16 v33, v40, 2.0, -v41
	v_sub_f16_e32 v35, v5, v37
	v_fmamk_f16 v37, v17, 0x39a8, v16
	v_fmamk_f16 v40, v34, 0x39a8, v20
	v_sub_f16_e32 v38, v27, v38
	v_sub_f16_e32 v3, v65, v3
	v_sub_f16_e32 v13, v1, v13
	v_sub_f16_e32 v12, v0, v12
	v_sub_f16_e32 v14, v2, v14
	v_fmac_f16_e32 v37, 0x39a8, v34
	v_fmac_f16_e32 v40, 0xb9a8, v17
	v_fma_f16 v17, v27, 2.0, -v38
	v_sub_f16_e32 v27, v47, v44
	v_sub_f16_e32 v34, v43, v42
	v_fma_f16 v42, v65, 2.0, -v3
	v_fma_f16 v1, v1, 2.0, -v13
	v_sub_f16_e32 v46, v31, v46
	v_fma_f16 v0, v0, 2.0, -v12
	v_fma_f16 v2, v2, 2.0, -v14
	;; [unrolled: 1-line block ×3, first 2 shown]
	v_sub_f16_e32 v1, v42, v1
	v_fma_f16 v31, v31, 2.0, -v46
	v_add_f16_e32 v13, v38, v13
	v_sub_f16_e32 v27, v3, v27
	v_add_f16_e32 v14, v34, v14
	v_sub_f16_e32 v2, v0, v2
	v_sub_f16_e32 v46, v12, v46
	;; [unrolled: 1-line block ×3, first 2 shown]
	v_fma_f16 v43, v43, 2.0, -v34
	v_fma_f16 v42, v42, 2.0, -v1
	;; [unrolled: 1-line block ×7, first 2 shown]
	v_add_f16_e32 v10, v28, v10
	v_fma_f16 v26, v26, 2.0, -v36
	v_sub_f16_e32 v44, v17, v44
	v_sub_f16_e32 v31, v43, v31
	v_fmamk_f16 v47, v34, 0xb9a8, v38
	v_sub_f16_e32 v0, v42, v0
	v_fmamk_f16 v53, v12, 0xb9a8, v3
	v_fma_f16 v28, v28, 2.0, -v10
	v_fma_f16 v9, v9, 2.0, -v39
	;; [unrolled: 1-line block ×3, first 2 shown]
	v_sub_f16_e32 v32, v26, v32
	v_fma_f16 v17, v17, 2.0, -v44
	v_fma_f16 v43, v43, 2.0, -v31
	v_add_f16_e32 v6, v36, v6
	v_fmac_f16_e32 v47, 0x39a8, v12
	v_fma_f16 v12, v42, 2.0, -v0
	v_fmac_f16_e32 v53, 0xb9a8, v34
	v_fmamk_f16 v34, v14, 0x39a8, v13
	v_fmamk_f16 v42, v46, 0x39a8, v27
	v_fma_f16 v26, v26, 2.0, -v32
	v_sub_f16_e32 v43, v17, v43
	v_pack_b32_f16 v9, v28, v9
	v_pack_b32_f16 v15, v19, v15
	v_fma_f16 v7, v7, 2.0, -v50
	v_fma_f16 v36, v36, 2.0, -v6
	;; [unrolled: 1-line block ×3, first 2 shown]
	v_add_f16_e32 v2, v44, v2
	v_sub_f16_e32 v31, v1, v31
	v_pack_b32_f16 v8, v49, v8
	v_pack_b32_f16 v19, v51, v52
	v_fma_f16 v16, v16, 2.0, -v37
	v_fma_f16 v20, v20, 2.0, -v40
	v_fmac_f16_e32 v34, 0x39a8, v46
	v_fmac_f16_e32 v42, 0xb9a8, v14
	v_pack_b32_f16 v10, v10, v39
	v_pack_b32_f16 v28, v45, v48
	v_fma_f16 v29, v29, 2.0, -v51
	v_fma_f16 v11, v11, 2.0, -v52
	;; [unrolled: 1-line block ×3, first 2 shown]
	v_pack_b32_f16 v18, v18, v25
	ds_write2_b32 v70, v9, v15 offset0:102 offset1:153
	ds_write2_b32 v70, v8, v19 offset0:204 offset1:255
	;; [unrolled: 1-line block ×3, first 2 shown]
	v_pack_b32_f16 v8, v26, v30
	v_fma_f16 v38, v38, 2.0, -v47
	v_fma_f16 v3, v3, 2.0, -v53
	;; [unrolled: 1-line block ×4, first 2 shown]
	v_pack_b32_f16 v7, v33, v7
	v_pack_b32_f16 v5, v36, v5
	v_fma_f16 v13, v13, 2.0, -v34
	v_fma_f16 v27, v27, 2.0, -v42
	v_pack_b32_f16 v9, v16, v20
	v_pack_b32_f16 v4, v32, v4
	;; [unrolled: 1-line block ×4, first 2 shown]
	v_add_nc_u32_e32 v15, 0x200, v112
	v_pack_b32_f16 v16, v37, v40
	v_pack_b32_f16 v11, v29, v11
	ds_write2_b32 v70, v18, v8 offset1:17
	ds_write2_b32 v112, v7, v5 offset0:51 offset1:102
	ds_write2_b32 v112, v9, v4 offset0:153 offset1:204
	;; [unrolled: 1-line block ×3, first 2 shown]
	ds_write_b32 v112, v16 offset:1428
	v_pack_b32_f16 v4, v17, v12
	v_pack_b32_f16 v3, v38, v3
	;; [unrolled: 1-line block ×7, first 2 shown]
	v_add_nc_u32_e32 v7, 0x200, v111
	v_pack_b32_f16 v8, v34, v42
	ds_write2_b32 v70, v4, v11 offset0:34 offset1:51
	ds_write2_b32 v111, v3, v1 offset0:51 offset1:102
	;; [unrolled: 1-line block ×4, first 2 shown]
	ds_write_b32 v111, v8 offset:1428
	s_waitcnt lgkmcnt(0)
	s_barrier
	buffer_gl0_inv
	ds_read2_b32 v[0:1], v70 offset1:24
	s_waitcnt lgkmcnt(0)
	v_lshrrev_b32_e32 v4, 16, v0
	v_lshrrev_b32_e32 v12, 16, v1
	v_mul_f16_sdwa v2, v92, v4 dst_sel:DWORD dst_unused:UNUSED_PAD src0_sel:WORD_1 src1_sel:DWORD
	v_mul_f16_sdwa v9, v91, v12 dst_sel:DWORD dst_unused:UNUSED_PAD src0_sel:WORD_1 src1_sel:DWORD
	v_fmac_f16_e32 v2, v92, v0
	v_mul_f16_sdwa v0, v92, v0 dst_sel:DWORD dst_unused:UNUSED_PAD src0_sel:WORD_1 src1_sel:DWORD
	v_fmac_f16_e32 v9, v91, v1
	v_mul_f16_sdwa v1, v91, v1 dst_sel:DWORD dst_unused:UNUSED_PAD src0_sel:WORD_1 src1_sel:DWORD
	v_cvt_f32_f16_e32 v2, v2
	v_fma_f16 v0, v92, v4, -v0
	v_cvt_f32_f16_e32 v9, v9
	v_cvt_f64_f32_e32 v[2:3], v2
	v_cvt_f32_f16_e32 v0, v0
	v_cvt_f64_f32_e32 v[4:5], v0
	v_mul_f64 v[2:3], v[2:3], s[4:5]
	v_mul_f64 v[4:5], v[4:5], s[4:5]
	v_and_or_b32 v0, 0x1ff, v3, v2
	v_lshrrev_b32_e32 v2, 8, v3
	v_bfe_u32 v6, v3, 20, 11
	v_cmp_ne_u32_e64 s0, 0, v0
	v_and_or_b32 v4, 0x1ff, v5, v4
	v_lshrrev_b32_e32 v7, 8, v5
	v_bfe_u32 v11, v5, 20, 11
	v_add_nc_u32_e32 v13, 0xfffffc10, v6
	v_cndmask_b32_e64 v0, 0, 1, s0
	v_cmp_ne_u32_e64 s0, 0, v4
	v_lshrrev_b32_e32 v5, 16, v5
	v_and_or_b32 v10, 0xffe, v2, v0
	v_sub_nc_u32_e32 v0, 0x3f1, v6
	v_cndmask_b32_e64 v4, 0, 1, s0
	v_or_b32_e32 v2, 0x1000, v10
	v_med3_i32 v0, v0, 0, 13
	v_and_or_b32 v4, 0xffe, v7, v4
	v_sub_nc_u32_e32 v7, 0x3f1, v11
	v_lshrrev_b32_e32 v8, v0, v2
	v_med3_i32 v14, v7, 0, 13
	v_mad_u64_u32 v[6:7], null, s10, v23, 0
	v_lshlrev_b32_e32 v0, v0, v8
	s_mul_i32 s10, s8, 0xc0
	v_cmp_ne_u32_e64 s0, v0, v2
	v_or_b32_e32 v2, 0x1000, v4
	v_cndmask_b32_e64 v0, 0, 1, s0
	v_lshrrev_b32_e32 v15, v14, v2
	v_cmp_gt_i32_e64 s0, 1, v13
	v_or_b32_e32 v0, v8, v0
	v_lshl_or_b32 v8, v13, 12, v10
	v_lshlrev_b32_e32 v14, v14, v15
	v_cndmask_b32_e64 v16, v8, v0, s0
	v_cvt_f64_f32_e32 v[8:9], v9
	v_cmp_ne_u32_e64 s0, v14, v2
	v_mov_b32_e32 v0, v7
	v_add_nc_u32_e32 v14, 0xfffffc10, v11
	v_and_b32_e32 v7, 7, v16
	v_fma_f16 v11, v91, v12, -v1
	v_cndmask_b32_e64 v2, 0, 1, s0
	v_mad_u64_u32 v[0:1], null, s11, v23, v[0:1]
	v_cmp_lt_i32_e64 s0, 5, v7
	v_cmp_eq_u32_e64 s1, 3, v7
	v_or_b32_e32 v1, v15, v2
	v_lshl_or_b32 v2, v14, 12, v4
	v_cvt_f32_f16_e32 v11, v11
	v_lshrrev_b32_e32 v7, 2, v16
	v_cmp_gt_i32_e64 s2, 1, v14
	s_or_b32 s0, s1, s0
	v_lshrrev_b32_e32 v16, 16, v3
	v_add_co_ci_u32_e64 v7, s0, 0, v7, s0
	v_cndmask_b32_e64 v12, v2, v1, s2
	v_cvt_f64_f32_e32 v[1:2], v11
	v_cmp_ne_u32_e64 s0, 0, v10
	v_mul_f64 v[8:9], v[8:9], s[4:5]
	v_cmp_eq_u32_e64 s2, 0x40f, v13
	v_and_b32_e32 v11, 7, v12
	v_cndmask_b32_e64 v10, 0, 1, s0
	v_cmp_gt_i32_e64 s0, 31, v13
	v_cmp_eq_u32_e64 s1, 3, v11
	v_lshl_or_b32 v10, v10, 9, 0x7c00
	v_cndmask_b32_e64 v15, 0x7c00, v7, s0
	v_cmp_lt_i32_e64 s0, 5, v11
	v_mov_b32_e32 v7, v0
	v_lshrrev_b32_e32 v0, 2, v12
	v_cndmask_b32_e64 v15, v15, v10, s2
	s_or_b32 s0, s1, s0
	v_mad_u64_u32 v[10:11], null, s8, v87, 0
	v_add_co_ci_u32_e64 v12, s0, 0, v0, s0
	v_cmp_gt_i32_e64 s0, 31, v14
	v_mul_f64 v[0:1], v[1:2], s[4:5]
	v_and_or_b32 v3, 0x1ff, v9, v8
	v_bfe_u32 v18, v9, 20, 11
	v_mov_b32_e32 v2, v11
	v_cndmask_b32_e64 v17, 0x7c00, v12, s0
	v_cmp_ne_u32_e64 s0, 0, v4
	ds_read2_b32 v[12:13], v70 offset0:48 offset1:72
	v_lshrrev_b32_e32 v11, 8, v9
	v_and_or_b32 v15, 0x8000, v16, v15
	v_lshrrev_b32_e32 v9, 16, v9
	v_cndmask_b32_e64 v4, 0, 1, s0
	v_cmp_ne_u32_e64 s0, 0, v3
	v_mad_u64_u32 v[2:3], null, s9, v87, v[2:3]
	v_sub_nc_u32_e32 v3, 0x3f1, v18
	v_lshl_or_b32 v4, v4, 9, 0x7c00
	v_cndmask_b32_e64 v8, 0, 1, s0
	v_cmp_eq_u32_e64 s0, 0x40f, v14
	v_add_nc_u32_e32 v18, 0xfffffc10, v18
	v_med3_i32 v3, v3, 0, 13
	v_and_b32_e32 v15, 0xffff, v15
	v_and_or_b32 v8, 0xffe, v11, v8
	v_cndmask_b32_e64 v4, v17, v4, s0
	v_and_or_b32 v0, 0x1ff, v1, v0
	v_mov_b32_e32 v11, v2
	v_lshrrev_b32_e32 v2, 8, v1
	v_or_b32_e32 v14, 0x1000, v8
	v_and_or_b32 v16, 0x8000, v5, v4
	v_cmp_ne_u32_e64 s0, 0, v0
	s_waitcnt lgkmcnt(0)
	v_lshrrev_b32_e32 v17, 16, v12
	v_bfe_u32 v19, v1, 20, 11
	v_lshrrev_b32_e32 v4, v3, v14
	v_lshl_or_b32 v15, v16, 16, v15
	v_cndmask_b32_e64 v0, 0, 1, s0
	v_mul_f16_sdwa v5, v90, v17 dst_sel:DWORD dst_unused:UNUSED_PAD src0_sel:WORD_1 src1_sel:DWORD
	v_lshrrev_b32_e32 v1, 16, v1
	v_lshlrev_b32_e32 v3, v3, v4
	v_and_or_b32 v0, 0xffe, v2, v0
	v_sub_nc_u32_e32 v2, 0x3f1, v19
	v_fmac_f16_e32 v5, v90, v12
	v_cmp_ne_u32_e64 s0, v3, v14
	v_add_nc_u32_e32 v19, 0xfffffc10, v19
	v_or_b32_e32 v20, 0x1000, v0
	v_med3_i32 v23, v2, 0, 13
	v_cvt_f32_f16_e32 v5, v5
	v_cndmask_b32_e64 v14, 0, 1, s0
	v_lshlrev_b64 v[2:3], 2, v[6:7]
	v_lshl_or_b32 v7, v18, 12, v8
	v_cmp_gt_i32_e64 s0, 1, v18
	v_cmp_gt_i32_e64 s2, 1, v19
	v_or_b32_e32 v6, v4, v14
	v_lshrrev_b32_e32 v14, v23, v20
	v_cvt_f64_f32_e32 v[4:5], v5
	v_cndmask_b32_e64 v16, v7, v6, s0
	v_lshlrev_b32_e32 v23, v23, v14
	v_add_co_u32 v2, s0, s6, v2
	v_add_co_ci_u32_e64 v3, s0, s7, v3, s0
	v_cmp_ne_u32_e64 s0, v23, v20
	v_lshlrev_b64 v[6:7], 2, v[10:11]
	v_mul_f16_sdwa v10, v90, v12 dst_sel:DWORD dst_unused:UNUSED_PAD src0_sel:WORD_1 src1_sel:DWORD
	v_and_b32_e32 v11, 7, v16
	s_mul_i32 s6, s8, 24
	v_cndmask_b32_e64 v12, 0, 1, s0
	v_fma_f16 v10, v90, v17, -v10
	v_cmp_lt_i32_e64 s0, 5, v11
	v_cmp_eq_u32_e64 s1, 3, v11
	v_or_b32_e32 v11, v14, v12
	v_lshrrev_b32_e32 v14, 2, v16
	v_lshl_or_b32 v12, v19, 12, v0
	v_cvt_f32_f16_e32 v10, v10
	s_or_b32 s0, s1, s0
	v_mul_f64 v[4:5], v[4:5], s[4:5]
	v_add_co_ci_u32_e64 v14, s0, 0, v14, s0
	v_cmp_ne_u32_e64 s0, 0, v8
	v_cndmask_b32_e64 v12, v12, v11, s2
	v_cvt_f64_f32_e32 v[10:11], v10
	v_cmp_eq_u32_e64 s2, 0x40f, v18
	v_cndmask_b32_e64 v8, 0, 1, s0
	v_add_co_u32 v6, s0, v2, v6
	v_add_co_ci_u32_e64 v7, s0, v3, v7, s0
	v_and_b32_e32 v16, 7, v12
	v_cmp_gt_i32_e64 s0, 31, v18
	v_lshrrev_b32_e32 v12, 2, v12
	v_lshl_or_b32 v8, v8, 9, 0x7c00
	global_store_dword v[6:7], v15, off
	v_cmp_eq_u32_e64 s1, 3, v16
	v_cndmask_b32_e64 v14, 0x7c00, v14, s0
	v_cmp_lt_i32_e64 s0, 5, v16
	v_and_or_b32 v4, 0x1ff, v5, v4
	v_bfe_u32 v16, v5, 20, 11
	v_cndmask_b32_e64 v8, v14, v8, s2
	s_or_b32 s0, s1, s0
	v_lshrrev_b32_e32 v14, 8, v5
	v_add_co_ci_u32_e64 v12, s0, 0, v12, s0
	v_cmp_ne_u32_e64 s0, 0, v0
	v_mul_f64 v[10:11], v[10:11], s[4:5]
	v_and_or_b32 v8, 0x8000, v9, v8
	s_mul_i32 s1, s9, 24
	s_mul_hi_u32 s2, s8, 24
	v_cndmask_b32_e64 v0, 0, 1, s0
	v_cmp_ne_u32_e64 s0, 0, v4
	v_and_b32_e32 v8, 0xffff, v8
	s_add_i32 s7, s2, s1
	v_lshl_or_b32 v0, v0, 9, 0x7c00
	v_cndmask_b32_e64 v4, 0, 1, s0
	v_cmp_gt_i32_e64 s0, 31, v19
	s_lshl_b64 s[6:7], s[6:7], 2
	v_and_or_b32 v4, 0xffe, v14, v4
	v_cndmask_b32_e64 v12, 0x7c00, v12, s0
	v_sub_nc_u32_e32 v14, 0x3f1, v16
	v_cmp_eq_u32_e64 s0, 0x40f, v19
	v_add_nc_u32_e32 v16, 0xfffffc10, v16
	v_med3_i32 v14, v14, 0, 13
	v_cndmask_b32_e64 v0, v12, v0, s0
	v_or_b32_e32 v12, 0x1000, v4
	v_bfe_u32 v17, v11, 20, 11
	v_and_or_b32 v15, 0x8000, v1, v0
	v_lshrrev_b32_e32 v9, v14, v12
	v_and_or_b32 v0, 0x1ff, v11, v10
	v_lshrrev_b32_e32 v10, 16, v13
	v_lshl_or_b32 v15, v15, 16, v8
	v_lshlrev_b32_e32 v1, v14, v9
	v_cmp_ne_u32_e64 s0, 0, v0
	v_mul_f16_sdwa v18, v89, v10 dst_sel:DWORD dst_unused:UNUSED_PAD src0_sel:WORD_1 src1_sel:DWORD
	v_lshrrev_b32_e32 v14, 8, v11
	v_lshrrev_b32_e32 v11, 16, v11
	v_cndmask_b32_e64 v0, 0, 1, s0
	v_cmp_ne_u32_e64 s0, v1, v12
	v_fmac_f16_e32 v18, v89, v13
	v_mul_f16_sdwa v13, v89, v13 dst_sel:DWORD dst_unused:UNUSED_PAD src0_sel:WORD_1 src1_sel:DWORD
	v_and_or_b32 v14, 0xffe, v14, v0
	v_cndmask_b32_e64 v1, 0, 1, s0
	v_sub_nc_u32_e32 v0, 0x3f1, v17
	v_cvt_f32_f16_e32 v18, v18
	v_cmp_gt_i32_e64 s0, 1, v16
	v_or_b32_e32 v12, 0x1000, v14
	v_or_b32_e32 v1, v9, v1
	v_lshl_or_b32 v9, v16, 12, v4
	v_med3_i32 v19, v0, 0, 13
	v_fma_f16 v10, v89, v10, -v13
	v_add_nc_u32_e32 v17, 0xfffffc10, v17
	v_cndmask_b32_e64 v9, v9, v1, s0
	v_cvt_f64_f32_e32 v[0:1], v18
	v_lshrrev_b32_e32 v18, v19, v12
	v_cvt_f32_f16_e32 v10, v10
	v_and_b32_e32 v20, 7, v9
	v_lshrrev_b32_e32 v9, 2, v9
	v_lshlrev_b32_e32 v8, v19, v18
	v_cmp_lt_i32_e64 s0, 5, v20
	v_cmp_eq_u32_e64 s1, 3, v20
	v_cmp_ne_u32_e64 s2, v8, v12
	s_or_b32 s0, s1, s0
	v_cndmask_b32_e64 v8, 0, 1, s2
	v_add_co_ci_u32_e64 v12, s0, 0, v9, s0
	v_cmp_ne_u32_e64 s0, 0, v4
	v_or_b32_e32 v13, v18, v8
	v_cvt_f64_f32_e32 v[8:9], v10
	v_mul_f64 v[0:1], v[0:1], s[4:5]
	v_lshl_or_b32 v10, v17, 12, v14
	v_cndmask_b32_e64 v4, 0, 1, s0
	v_cmp_gt_i32_e64 s0, 1, v17
	v_lshl_or_b32 v4, v4, 9, 0x7c00
	v_cndmask_b32_e64 v10, v10, v13, s0
	v_cmp_gt_i32_e64 s0, 31, v16
	v_and_b32_e32 v19, 7, v10
	v_cndmask_b32_e64 v18, 0x7c00, v12, s0
	v_add_co_u32 v6, s0, v6, s6
	ds_read2_b32 v[12:13], v70 offset0:96 offset1:120
	v_add_co_ci_u32_e64 v7, s0, s7, v7, s0
	v_cmp_eq_u32_e64 s0, 0x40f, v16
	v_cmp_eq_u32_e64 s1, 3, v19
	v_and_or_b32 v0, 0x1ff, v1, v0
	global_store_dword v[6:7], v15, off
	v_cndmask_b32_e64 v16, v18, v4, s0
	v_cmp_lt_i32_e64 s0, 5, v19
	v_lshrrev_b32_e32 v18, 16, v5
	v_mul_f64 v[4:5], v[8:9], s[4:5]
	v_lshrrev_b32_e32 v8, 2, v10
	v_lshrrev_b32_e32 v9, 8, v1
	s_or_b32 s0, s1, s0
	v_and_or_b32 v10, 0x8000, v18, v16
	v_bfe_u32 v16, v1, 20, 11
	v_add_co_ci_u32_e64 v8, s0, 0, v8, s0
	v_cmp_ne_u32_e64 s0, 0, v0
	s_waitcnt lgkmcnt(0)
	v_lshrrev_b32_e32 v18, 16, v12
	v_and_b32_e32 v10, 0xffff, v10
	v_cndmask_b32_e64 v0, 0, 1, s0
	v_cmp_ne_u32_e64 s0, 0, v14
	v_mul_f16_sdwa v19, v88, v18 dst_sel:DWORD dst_unused:UNUSED_PAD src0_sel:WORD_1 src1_sel:DWORD
	v_and_or_b32 v0, 0xffe, v9, v0
	v_cndmask_b32_e64 v14, 0, 1, s0
	v_sub_nc_u32_e32 v9, 0x3f1, v16
	v_cmp_gt_i32_e64 s0, 31, v17
	v_fmac_f16_e32 v19, v88, v12
	v_or_b32_e32 v20, 0x1000, v0
	v_lshl_or_b32 v14, v14, 9, 0x7c00
	v_med3_i32 v9, v9, 0, 13
	v_cndmask_b32_e64 v8, 0x7c00, v8, s0
	v_cmp_eq_u32_e64 s0, 0x40f, v17
	v_and_or_b32 v4, 0x1ff, v5, v4
	v_bfe_u32 v23, v5, 20, 11
	v_lshrrev_b32_e32 v17, v9, v20
	v_mul_f16_sdwa v12, v88, v12 dst_sel:DWORD dst_unused:UNUSED_PAD src0_sel:WORD_1 src1_sel:DWORD
	v_cndmask_b32_e64 v14, v8, v14, s0
	v_cvt_f32_f16_e32 v8, v19
	v_cmp_ne_u32_e64 s0, 0, v4
	v_lshlrev_b32_e32 v25, v9, v17
	v_lshrrev_b32_e32 v19, 8, v5
	v_and_or_b32 v11, 0x8000, v11, v14
	v_cvt_f64_f32_e32 v[8:9], v8
	v_cndmask_b32_e64 v4, 0, 1, s0
	v_sub_nc_u32_e32 v14, 0x3f1, v23
	v_cmp_ne_u32_e64 s0, v25, v20
	v_add_nc_u32_e32 v16, 0xfffffc10, v16
	v_fma_f16 v12, v88, v18, -v12
	v_and_or_b32 v4, 0xffe, v19, v4
	v_med3_i32 v14, v14, 0, 13
	v_cndmask_b32_e64 v19, 0, 1, s0
	v_cmp_gt_i32_e64 s0, 1, v16
	v_cvt_f32_f16_e32 v12, v12
	v_or_b32_e32 v20, 0x1000, v4
	v_lshl_or_b32 v15, v11, 16, v10
	v_or_b32_e32 v17, v17, v19
	v_lshl_or_b32 v19, v16, 12, v0
	v_cvt_f64_f32_e32 v[10:11], v12
	v_lshrrev_b32_e32 v18, v14, v20
	v_lshrrev_b32_e32 v5, 16, v5
	v_cndmask_b32_e64 v17, v19, v17, s0
	v_lshlrev_b32_e32 v14, v14, v18
	v_mul_f64 v[8:9], v[8:9], s[4:5]
	v_and_b32_e32 v19, 7, v17
	v_cmp_ne_u32_e64 s0, v14, v20
	v_add_nc_u32_e32 v14, 0xfffffc10, v23
	v_cmp_eq_u32_e64 s1, 3, v19
	v_cndmask_b32_e64 v12, 0, 1, s0
	v_add_co_u32 v6, s0, v6, s6
	v_add_co_ci_u32_e64 v7, s0, s7, v7, s0
	v_cmp_lt_i32_e64 s0, 5, v19
	v_or_b32_e32 v12, v18, v12
	v_lshl_or_b32 v18, v14, 12, v4
	global_store_dword v[6:7], v15, off
	v_lshrrev_b32_e32 v15, 2, v17
	s_or_b32 s0, s1, s0
	v_cmp_gt_i32_e64 s2, 1, v14
	v_mul_f64 v[10:11], v[10:11], s[4:5]
	v_and_or_b32 v8, 0x1ff, v9, v8
	v_add_co_ci_u32_e64 v15, s0, 0, v15, s0
	v_cmp_ne_u32_e64 s0, 0, v0
	v_cndmask_b32_e64 v12, v18, v12, s2
	v_cmp_ne_u32_e64 s2, 0, v8
	v_bfe_u32 v18, v9, 20, 11
	v_lshrrev_b32_e32 v19, 16, v13
	v_cndmask_b32_e64 v0, 0, 1, s0
	v_cmp_gt_i32_e64 s0, 31, v16
	v_and_b32_e32 v17, 7, v12
	v_cndmask_b32_e64 v8, 0, 1, s2
	v_cmp_eq_u32_e64 s2, 0x40f, v16
	v_lshl_or_b32 v0, v0, 9, 0x7c00
	v_cndmask_b32_e64 v15, 0x7c00, v15, s0
	v_cmp_lt_i32_e64 s0, 5, v17
	v_cmp_eq_u32_e64 s1, 3, v17
	v_lshrrev_b32_e32 v16, 16, v1
	v_lshrrev_b32_e32 v17, 8, v9
	v_cndmask_b32_e64 v15, v15, v0, s2
	v_lshrrev_b32_e32 v0, 2, v12
	s_or_b32 s0, s1, s0
	v_and_or_b32 v10, 0x1ff, v11, v10
	v_lshrrev_b32_e32 v20, 8, v11
	v_bfe_u32 v23, v11, 20, 11
	v_add_co_ci_u32_e64 v0, s0, 0, v0, s0
	v_cmp_gt_i32_e64 s0, 31, v14
	v_and_or_b32 v15, 0x8000, v16, v15
	v_and_or_b32 v8, 0xffe, v17, v8
	v_sub_nc_u32_e32 v12, 0x3f1, v18
	v_mul_f16_sdwa v25, v86, v19 dst_sel:DWORD dst_unused:UNUSED_PAD src0_sel:WORD_1 src1_sel:DWORD
	v_cndmask_b32_e64 v0, 0x7c00, v0, s0
	v_cmp_ne_u32_e64 s0, 0, v4
	v_or_b32_e32 v1, 0x1000, v8
	v_med3_i32 v12, v12, 0, 13
	v_fmac_f16_e32 v25, v86, v13
	v_add_nc_u32_e32 v18, 0xfffffc10, v18
	v_cndmask_b32_e64 v4, 0, 1, s0
	v_cmp_ne_u32_e64 s0, 0, v10
	v_lshrrev_b32_e32 v17, v12, v1
	v_mul_f16_sdwa v13, v86, v13 dst_sel:DWORD dst_unused:UNUSED_PAD src0_sel:WORD_1 src1_sel:DWORD
	v_lshrrev_b32_e32 v11, 16, v11
	v_lshl_or_b32 v4, v4, 9, 0x7c00
	v_cndmask_b32_e64 v10, 0, 1, s0
	v_cmp_eq_u32_e64 s0, 0x40f, v14
	v_lshlrev_b32_e32 v12, v12, v17
	v_fma_f16 v13, v86, v19, -v13
	v_and_or_b32 v10, 0xffe, v20, v10
	v_cndmask_b32_e64 v4, v0, v4, s0
	v_sub_nc_u32_e32 v20, 0x3f1, v23
	v_cmp_ne_u32_e64 s0, v12, v1
	v_cvt_f32_f16_e32 v0, v25
	v_or_b32_e32 v14, 0x1000, v10
	v_and_or_b32 v4, 0x8000, v5, v4
	v_and_b32_e32 v5, 0xffff, v15
	v_add_nc_u32_e32 v15, 0xfffffc10, v23
	buffer_load_dword v23, off, s[20:23], 0 offset:12 ; 4-byte Folded Reload
	v_med3_i32 v20, v20, 0, 13
	v_cndmask_b32_e64 v12, 0, 1, s0
	v_cmp_gt_i32_e64 s0, 1, v18
	v_cvt_f64_f32_e32 v[0:1], v0
	v_cmp_gt_i32_e64 s2, 1, v15
	v_lshrrev_b32_e32 v25, v20, v14
	v_or_b32_e32 v12, v17, v12
	v_lshl_or_b32 v17, v18, 12, v8
	v_cvt_f32_f16_e32 v13, v13
	v_lshlrev_b32_e32 v16, v20, v25
	v_cndmask_b32_e64 v12, v17, v12, s0
	v_lshl_or_b32 v17, v4, 16, v5
	v_lshl_or_b32 v5, v15, 12, v10
	v_cmp_ne_u32_e64 s0, v16, v14
	v_and_b32_e32 v16, 7, v12
	v_lshrrev_b32_e32 v12, 2, v12
	v_cndmask_b32_e64 v14, 0, 1, s0
	v_cmp_lt_i32_e64 s0, 5, v16
	v_cmp_eq_u32_e64 s1, 3, v16
	v_lshrrev_b32_e32 v16, 16, v9
	v_or_b32_e32 v4, v25, v14
	v_mul_f64 v[0:1], v[0:1], s[4:5]
	s_or_b32 s0, s1, s0
	v_cndmask_b32_e64 v14, v5, v4, s2
	v_add_co_u32 v4, s2, v6, s6
	v_add_co_ci_u32_e64 v12, s0, 0, v12, s0
	v_add_co_ci_u32_e64 v5, s2, s7, v7, s2
	v_cvt_f64_f32_e32 v[6:7], v13
	v_and_b32_e32 v13, 7, v14
	v_cmp_ne_u32_e64 s0, 0, v8
	v_cmp_gt_i32_e64 s2, 31, v18
	global_store_dword v[4:5], v17, off
	v_cmp_eq_u32_e64 s1, 3, v13
	v_cndmask_b32_e64 v8, 0, 1, s0
	v_cmp_lt_i32_e64 s0, 5, v13
	v_lshrrev_b32_e32 v13, 2, v14
	v_cndmask_b32_e64 v12, 0x7c00, v12, s2
	v_and_or_b32 v0, 0x1ff, v1, v0
	v_lshl_or_b32 v8, v8, 9, 0x7c00
	s_or_b32 s0, s1, s0
	v_lshrrev_b32_e32 v19, 8, v1
	v_add_co_ci_u32_e64 v13, s0, 0, v13, s0
	v_cmp_eq_u32_e64 s0, 0x40f, v18
	v_bfe_u32 v20, v1, 20, 11
	v_cndmask_b32_e64 v14, v12, v8, s0
	v_cmp_gt_i32_e64 s0, 31, v15
	v_mul_f64 v[6:7], v[6:7], s[4:5]
	ds_read2_b32 v[8:9], v70 offset0:144 offset1:168
	v_and_or_b32 v16, 0x8000, v16, v14
	v_cndmask_b32_e64 v18, 0x7c00, v13, s0
	v_cmp_ne_u32_e64 s0, 0, v10
	v_cndmask_b32_e64 v10, 0, 1, s0
	v_cmp_ne_u32_e64 s0, 0, v0
	v_lshl_or_b32 v10, v10, 9, 0x7c00
	v_cndmask_b32_e64 v0, 0, 1, s0
	v_cmp_eq_u32_e64 s0, 0x40f, v15
	v_and_or_b32 v19, 0xffe, v19, v0
	v_sub_nc_u32_e32 v0, 0x3f1, v20
	v_cndmask_b32_e64 v10, v18, v10, s0
	v_and_or_b32 v6, 0x1ff, v7, v6
	v_lshrrev_b32_e32 v14, 8, v7
	v_or_b32_e32 v15, 0x1000, v19
	v_med3_i32 v18, v0, 0, 13
	v_and_or_b32 v17, 0x8000, v11, v10
	v_cmp_ne_u32_e64 s0, 0, v6
	v_add_nc_u32_e32 v20, 0xfffffc10, v20
	v_cndmask_b32_e64 v6, 0, 1, s0
	v_and_or_b32 v6, 0xffe, v14, v6
	s_waitcnt vmcnt(0)
	v_mad_u64_u32 v[12:13], null, s8, v23, 0
	v_mov_b32_e32 v0, v13
	v_lshrrev_b32_e32 v13, v18, v15
	v_mad_u64_u32 v[10:11], null, s9, v23, v[0:1]
	v_lshlrev_b32_e32 v11, v18, v13
	s_waitcnt lgkmcnt(0)
	v_lshrrev_b32_e32 v0, 16, v8
	v_bfe_u32 v23, v7, 20, 11
	v_lshrrev_b32_e32 v7, 16, v7
	v_cmp_ne_u32_e64 s0, v11, v15
	v_mul_f16_sdwa v18, v85, v0 dst_sel:DWORD dst_unused:UNUSED_PAD src0_sel:WORD_1 src1_sel:DWORD
	v_sub_nc_u32_e32 v14, 0x3f1, v23
	v_cndmask_b32_e64 v11, 0, 1, s0
	v_fmac_f16_e32 v18, v85, v8
	v_cmp_gt_i32_e64 s0, 1, v20
	v_med3_i32 v25, v14, 0, 13
	v_mul_f16_sdwa v8, v85, v8 dst_sel:DWORD dst_unused:UNUSED_PAD src0_sel:WORD_1 src1_sel:DWORD
	v_or_b32_e32 v11, v13, v11
	v_lshl_or_b32 v13, v20, 12, v19
	v_cvt_f32_f16_e32 v15, v18
	v_or_b32_e32 v18, 0x1000, v6
	v_fma_f16 v0, v85, v0, -v8
	v_cndmask_b32_e64 v26, v13, v11, s0
	v_cvt_f64_f32_e32 v[14:15], v15
	v_and_b32_e32 v11, 0xffff, v16
	v_mov_b32_e32 v13, v10
	v_lshrrev_b32_e32 v16, v25, v18
	v_and_b32_e32 v27, 7, v26
	v_cvt_f32_f16_e32 v0, v0
	v_lshl_or_b32 v17, v17, 16, v11
	v_lshlrev_b64 v[10:11], 2, v[12:13]
	v_lshlrev_b32_e32 v12, v25, v16
	v_cmp_lt_i32_e64 s0, 5, v27
	v_cmp_eq_u32_e64 s1, 3, v27
	v_lshrrev_b32_e32 v13, 2, v26
	v_cmp_ne_u32_e64 s2, v12, v18
	v_add_nc_u32_e32 v18, 0xfffffc10, v23
	s_or_b32 s0, s1, s0
	v_add_co_ci_u32_e64 v8, s0, 0, v13, s0
	v_cndmask_b32_e64 v12, 0, 1, s2
	v_cmp_ne_u32_e64 s0, 0, v19
	v_lshl_or_b32 v23, v18, 12, v6
	v_cmp_eq_u32_e64 s2, 0x40f, v20
	v_or_b32_e32 v16, v16, v12
	v_mul_f64 v[12:13], v[14:15], s[4:5]
	v_cndmask_b32_e64 v19, 0, 1, s0
	v_cvt_f64_f32_e32 v[14:15], v0
	v_cmp_gt_i32_e64 s0, 1, v18
	v_lshl_or_b32 v19, v19, 9, 0x7c00
	v_cndmask_b32_e64 v0, v23, v16, s0
	v_add_co_u32 v10, s0, v2, v10
	v_add_co_ci_u32_e64 v11, s0, v3, v11, s0
	v_and_b32_e32 v16, 7, v0
	v_cmp_gt_i32_e64 s0, 31, v20
	v_lshrrev_b32_e32 v0, 2, v0
	global_store_dword v[10:11], v17, off
	v_lshrrev_b32_e32 v10, 16, v1
	v_cmp_eq_u32_e64 s1, 3, v16
	v_cndmask_b32_e64 v8, 0x7c00, v8, s0
	v_cmp_lt_i32_e64 s0, 5, v16
	v_lshrrev_b32_e32 v16, 16, v9
	v_and_or_b32 v11, 0x1ff, v13, v12
	v_cndmask_b32_e64 v8, v8, v19, s2
	s_or_b32 s0, s1, s0
	v_mul_f16_sdwa v17, v84, v16 dst_sel:DWORD dst_unused:UNUSED_PAD src0_sel:WORD_1 src1_sel:DWORD
	v_add_co_ci_u32_e64 v12, s0, 0, v0, s0
	v_mul_f64 v[0:1], v[14:15], s[4:5]
	v_cmp_ne_u32_e64 s0, 0, v11
	v_lshrrev_b32_e32 v14, 8, v13
	v_bfe_u32 v15, v13, 20, 11
	v_fmac_f16_e32 v17, v84, v9
	v_and_or_b32 v8, 0x8000, v10, v8
	v_cndmask_b32_e64 v11, 0, 1, s0
	v_cmp_ne_u32_e64 s0, 0, v6
	s_mul_i32 s1, s9, 0xc0
	v_mul_f16_sdwa v9, v84, v9 dst_sel:DWORD dst_unused:UNUSED_PAD src0_sel:WORD_1 src1_sel:DWORD
	v_and_b32_e32 v8, 0xffff, v8
	v_and_or_b32 v11, 0xffe, v14, v11
	v_cndmask_b32_e64 v6, 0, 1, s0
	v_sub_nc_u32_e32 v14, 0x3f1, v15
	v_cmp_gt_i32_e64 s0, 31, v18
	v_add_nc_u32_e32 v15, 0xfffffc10, v15
	v_or_b32_e32 v19, 0x1000, v11
	v_lshl_or_b32 v6, v6, 9, 0x7c00
	v_med3_i32 v14, v14, 0, 13
	v_cndmask_b32_e64 v12, 0x7c00, v12, s0
	v_cmp_eq_u32_e64 s0, 0x40f, v18
	s_add_i32 s3, s3, s1
	v_and_or_b32 v0, 0x1ff, v1, v0
	v_bfe_u32 v18, v1, 20, 11
	v_fma_f16 v9, v84, v16, -v9
	v_cndmask_b32_e64 v6, v12, v6, s0
	v_cvt_f32_f16_e32 v12, v17
	v_lshrrev_b32_e32 v17, v14, v19
	v_cmp_ne_u32_e64 s0, 0, v0
	v_add_nc_u32_e32 v16, 0xfffffc10, v18
	v_and_or_b32 v10, 0x8000, v7, v6
	v_cvt_f64_f32_e32 v[6:7], v12
	v_lshlrev_b32_e32 v12, v14, v17
	v_cndmask_b32_e64 v0, 0, 1, s0
	v_lshrrev_b32_e32 v14, 8, v1
	v_lshl_or_b32 v20, v10, 16, v8
	v_cvt_f32_f16_e32 v9, v9
	v_cmp_ne_u32_e64 s0, v12, v19
	v_cmp_eq_u32_e64 s2, 0x40f, v15
	v_and_or_b32 v0, 0xffe, v14, v0
	v_sub_nc_u32_e32 v14, 0x3f1, v18
	v_lshrrev_b32_e32 v13, 16, v13
	v_cndmask_b32_e64 v12, 0, 1, s0
	v_cmp_gt_i32_e64 s0, 1, v15
	v_or_b32_e32 v19, 0x1000, v0
	v_med3_i32 v14, v14, 0, 13
	v_or_b32_e32 v12, v17, v12
	v_lshl_or_b32 v17, v15, 12, v11
	v_lshrrev_b32_e32 v10, v14, v19
	v_cndmask_b32_e64 v8, v17, v12, s0
	v_mul_f64 v[6:7], v[6:7], s[4:5]
	v_lshlrev_b32_e32 v14, v14, v10
	v_and_b32_e32 v12, 7, v8
	v_cmp_ne_u32_e64 s1, v14, v19
	v_cmp_lt_i32_e64 s0, 5, v12
	v_cndmask_b32_e64 v14, 0, 1, s1
	v_cmp_eq_u32_e64 s1, 3, v12
	v_lshrrev_b32_e32 v12, 2, v8
	v_cvt_f64_f32_e32 v[8:9], v9
	v_or_b32_e32 v10, v10, v14
	s_or_b32 s0, s1, s0
	v_lshl_or_b32 v14, v16, 12, v0
	v_add_co_ci_u32_e64 v12, s0, 0, v12, s0
	v_cmp_gt_i32_e64 s0, 1, v16
	v_and_or_b32 v6, 0x1ff, v7, v6
	v_lshrrev_b32_e32 v17, 8, v7
	v_bfe_u32 v19, v7, 20, 11
	v_lshrrev_b32_e32 v7, 16, v7
	v_cndmask_b32_e64 v14, v14, v10, s0
	v_cmp_gt_i32_e64 s0, 31, v15
	v_cndmask_b32_e64 v12, 0x7c00, v12, s0
	v_cmp_ne_u32_e64 s0, 0, v11
	v_and_b32_e32 v11, 7, v14
	v_lshrrev_b32_e32 v14, 2, v14
	v_mul_f64 v[8:9], v[8:9], s[4:5]
	v_cndmask_b32_e64 v10, 0, 1, s0
	v_cmp_ne_u32_e64 s0, 0, v6
	v_cmp_eq_u32_e64 s1, 3, v11
	v_lshl_or_b32 v18, v10, 9, 0x7c00
	v_cndmask_b32_e64 v6, 0, 1, s0
	v_cmp_lt_i32_e64 s0, 5, v11
	ds_read2_b32 v[10:11], v70 offset0:192 offset1:216
	v_cndmask_b32_e64 v12, v12, v18, s2
	v_and_or_b32 v6, 0xffe, v17, v6
	v_sub_nc_u32_e32 v17, 0x3f1, v19
	s_or_b32 s0, s1, s0
	v_add_nc_u32_e32 v19, 0xfffffc10, v19
	v_add_co_ci_u32_e64 v14, s0, 0, v14, s0
	v_or_b32_e32 v15, 0x1000, v6
	v_med3_i32 v17, v17, 0, 13
	v_cmp_ne_u32_e64 s0, 0, v0
	v_and_or_b32 v12, 0x8000, v13, v12
	v_lshrrev_b32_e32 v18, v17, v15
	v_cndmask_b32_e64 v0, 0, 1, s0
	v_cmp_gt_i32_e64 s0, 31, v16
	v_and_b32_e32 v12, 0xffff, v12
	v_lshlrev_b32_e32 v13, v17, v18
	v_lshl_or_b32 v0, v0, 9, 0x7c00
	v_cndmask_b32_e64 v14, 0x7c00, v14, s0
	s_waitcnt lgkmcnt(0)
	v_lshrrev_b32_e32 v17, 16, v10
	v_cmp_eq_u32_e64 s0, 0x40f, v16
	v_lshrrev_b32_e32 v16, 16, v1
	v_mul_f16_sdwa v1, v82, v17 dst_sel:DWORD dst_unused:UNUSED_PAD src0_sel:WORD_1 src1_sel:DWORD
	v_cndmask_b32_e64 v14, v14, v0, s0
	v_and_or_b32 v0, 0x1ff, v9, v8
	v_cmp_ne_u32_e64 s0, v13, v15
	v_lshrrev_b32_e32 v13, 8, v9
	v_fmac_f16_e32 v1, v82, v10
	v_bfe_u32 v15, v9, 20, 11
	v_mul_f16_sdwa v10, v82, v10 dst_sel:DWORD dst_unused:UNUSED_PAD src0_sel:WORD_1 src1_sel:DWORD
	v_cndmask_b32_e64 v8, 0, 1, s0
	v_cmp_ne_u32_e64 s0, 0, v0
	v_cvt_f32_f16_e32 v1, v1
	v_and_or_b32 v14, 0x8000, v16, v14
	v_fma_f16 v10, v82, v17, -v10
	v_or_b32_e32 v8, v18, v8
	v_cndmask_b32_e64 v0, 0, 1, s0
	v_lshl_or_b32 v18, v19, 12, v6
	v_cmp_gt_i32_e64 s0, 1, v19
	v_lshl_or_b32 v17, v14, 16, v12
	v_cvt_f32_f16_e32 v10, v10
	v_and_or_b32 v23, 0xffe, v13, v0
	v_sub_nc_u32_e32 v13, 0x3f1, v15
	v_cvt_f64_f32_e32 v[0:1], v1
	v_cndmask_b32_e64 v8, v18, v8, s0
	v_add_co_u32 v4, s0, v4, s10
	v_or_b32_e32 v18, 0x1000, v23
	v_med3_i32 v13, v13, 0, 13
	v_and_b32_e32 v16, 7, v8
	v_add_co_ci_u32_e64 v5, s0, s3, v5, s0
	v_lshrrev_b32_e32 v8, 2, v8
	v_lshrrev_b32_e32 v25, v13, v18
	v_cmp_lt_i32_e64 s0, 5, v16
	v_cmp_eq_u32_e64 s1, 3, v16
	v_lshrrev_b32_e32 v9, 16, v9
	v_lshlrev_b32_e32 v12, v13, v25
	s_or_b32 s0, s1, s0
	v_add_co_ci_u32_e64 v8, s0, 0, v8, s0
	v_cmp_ne_u32_e64 s2, v12, v18
	v_cvt_f64_f32_e32 v[12:13], v10
	v_cmp_ne_u32_e64 s0, 0, v6
	v_mul_f64 v[0:1], v[0:1], s[4:5]
	v_add_nc_u32_e32 v10, 0xfffffc10, v15
	v_cndmask_b32_e64 v14, 0, 1, s2
	v_cndmask_b32_e64 v6, 0, 1, s0
	v_cmp_gt_i32_e64 s0, 31, v19
	v_lshl_or_b32 v15, v10, 12, v23
	v_or_b32_e32 v14, v25, v14
	v_lshl_or_b32 v6, v6, 9, 0x7c00
	v_cndmask_b32_e64 v8, 0x7c00, v8, s0
	v_cmp_gt_i32_e64 s0, 1, v10
	v_cndmask_b32_e64 v16, v15, v14, s0
	v_add_co_u32 v14, s0, v4, s6
	v_add_co_ci_u32_e64 v15, s0, s7, v5, s0
	v_and_b32_e32 v18, 7, v16
	v_cmp_eq_u32_e64 s0, 0x40f, v19
	v_mul_f64 v[12:13], v[12:13], s[4:5]
	v_and_or_b32 v0, 0x1ff, v1, v0
	global_store_dword v[4:5], v20, off
	global_store_dword v[14:15], v17, off
	v_cmp_eq_u32_e64 s1, 3, v18
	v_cndmask_b32_e64 v6, v8, v6, s0
	v_cmp_lt_i32_e64 s0, 5, v18
	v_lshrrev_b32_e32 v8, 2, v16
	v_cmp_ne_u32_e64 s2, 0, v0
	v_lshrrev_b32_e32 v16, 8, v1
	v_bfe_u32 v18, v1, 20, 11
	s_or_b32 s0, s1, s0
	v_and_or_b32 v6, 0x8000, v7, v6
	v_add_co_ci_u32_e64 v8, s0, 0, v8, s0
	v_cndmask_b32_e64 v0, 0, 1, s2
	v_cmp_ne_u32_e64 s0, 0, v23
	v_and_b32_e32 v27, 0xffff, v6
	buffer_load_dword v31, off, s[20:23], 0 offset:4 ; 4-byte Folded Reload
	v_and_or_b32 v0, 0xffe, v16, v0
	v_cndmask_b32_e64 v19, 0, 1, s0
	v_sub_nc_u32_e32 v16, 0x3f1, v18
	v_cmp_gt_i32_e64 s0, 31, v10
	v_and_or_b32 v12, 0x1ff, v13, v12
	v_or_b32_e32 v23, 0x1000, v0
	v_lshl_or_b32 v19, v19, 9, 0x7c00
	v_med3_i32 v16, v16, 0, 13
	v_cndmask_b32_e64 v8, 0x7c00, v8, s0
	v_cmp_eq_u32_e64 s0, 0x40f, v10
	v_bfe_u32 v25, v13, 20, 11
	v_add_nc_u32_e32 v18, 0xfffffc10, v18
	v_cndmask_b32_e64 v7, v8, v19, s0
	v_lshrrev_b32_e32 v8, v16, v23
	v_cmp_ne_u32_e64 s0, 0, v12
	v_lshrrev_b32_e32 v12, 16, v11
	v_lshrrev_b32_e32 v19, 8, v13
	v_and_or_b32 v9, 0x8000, v9, v7
	v_lshlrev_b32_e32 v16, v16, v8
	v_cndmask_b32_e64 v10, 0, 1, s0
	v_mul_f16_sdwa v26, v81, v12 dst_sel:DWORD dst_unused:UNUSED_PAD src0_sel:WORD_1 src1_sel:DWORD
	v_lshl_or_b32 v17, v9, 16, v27
	v_cmp_ne_u32_e64 s0, v16, v23
	v_and_or_b32 v10, 0xffe, v19, v10
	v_sub_nc_u32_e32 v19, 0x3f1, v25
	v_fmac_f16_e32 v26, v81, v11
	v_cndmask_b32_e64 v16, 0, 1, s0
	v_or_b32_e32 v23, 0x1000, v10
	v_med3_i32 v19, v19, 0, 13
	v_cvt_f32_f16_e32 v7, v26
	v_cmp_gt_i32_e64 s0, 1, v18
	v_or_b32_e32 v8, v8, v16
	v_lshl_or_b32 v16, v18, 12, v0
	v_lshrrev_b32_e32 v26, v19, v23
	v_cvt_f64_f32_e32 v[6:7], v7
	v_cndmask_b32_e64 v8, v16, v8, s0
	v_lshlrev_b32_e32 v16, v19, v26
	v_add_nc_u32_e32 v19, 0xfffffc10, v25
	v_and_b32_e32 v9, 7, v8
	v_cmp_ne_u32_e64 s0, v16, v23
	v_lshrrev_b32_e32 v8, 2, v8
	v_cmp_gt_i32_e64 s2, 1, v19
	v_cmp_eq_u32_e64 s1, 3, v9
	v_cndmask_b32_e64 v16, 0, 1, s0
	v_add_co_u32 v4, s0, v14, s6
	v_add_co_ci_u32_e64 v5, s0, s7, v15, s0
	v_or_b32_e32 v14, v26, v16
	buffer_load_dword v26, off, s[20:23], 0 offset:8 ; 4-byte Folded Reload
	v_cmp_lt_i32_e64 s0, 5, v9
	v_mul_f16_sdwa v9, v81, v11 dst_sel:DWORD dst_unused:UNUSED_PAD src0_sel:WORD_1 src1_sel:DWORD
	v_lshl_or_b32 v15, v19, 12, v10
	v_mul_f64 v[6:7], v[6:7], s[4:5]
	global_store_dword v[4:5], v17, off
	s_or_b32 s0, s1, s0
	v_fma_f16 v9, v81, v12, -v9
	v_add_co_ci_u32_e64 v8, s0, 0, v8, s0
	v_cmp_ne_u32_e64 s0, 0, v0
	v_cndmask_b32_e64 v11, v15, v14, s2
	v_cvt_f32_f16_e32 v9, v9
	v_cmp_eq_u32_e64 s2, 0x40f, v18
	v_lshrrev_b32_e32 v15, 16, v1
	v_cndmask_b32_e64 v0, 0, 1, s0
	v_cmp_gt_i32_e64 s0, 31, v18
	v_and_b32_e32 v12, 7, v11
	v_lshrrev_b32_e32 v11, 2, v11
	v_lshl_or_b32 v0, v0, 9, 0x7c00
	v_cndmask_b32_e64 v14, 0x7c00, v8, s0
	v_cvt_f64_f32_e32 v[8:9], v9
	v_cmp_lt_i32_e64 s0, 5, v12
	v_cmp_eq_u32_e64 s1, 3, v12
	v_add_nc_u32_e32 v12, 0x200, v70
	v_cndmask_b32_e64 v14, v14, v0, s2
	v_and_or_b32 v6, 0x1ff, v7, v6
	v_lshrrev_b32_e32 v18, 8, v7
	s_or_b32 s0, s1, s0
	ds_read2_b32 v[0:1], v12 offset0:112 offset1:136
	v_add_co_ci_u32_e64 v12, s0, 0, v11, s0
	v_cmp_ne_u32_e64 s0, 0, v10
	v_bfe_u32 v20, v7, 20, 11
	v_cndmask_b32_e64 v16, 0, 1, s0
	v_cmp_ne_u32_e64 s0, 0, v6
	v_sub_nc_u32_e32 v23, 0x3f1, v20
	v_add_nc_u32_e32 v17, 0xfffffc10, v20
	v_lshl_or_b32 v16, v16, 9, 0x7c00
	v_cndmask_b32_e64 v6, 0, 1, s0
	v_mul_f64 v[8:9], v[8:9], s[4:5]
	v_cmp_gt_i32_e64 s0, 31, v19
	v_med3_i32 v23, v23, 0, 13
	v_and_or_b32 v18, 0xffe, v18, v6
	v_cndmask_b32_e64 v12, 0x7c00, v12, s0
	v_cmp_eq_u32_e64 s0, 0x40f, v19
	s_waitcnt lgkmcnt(0)
	v_lshrrev_b32_e32 v19, 16, v0
	v_or_b32_e32 v25, 0x1000, v18
	v_cndmask_b32_e64 v16, v12, v16, s0
	v_and_or_b32 v8, 0x1ff, v9, v8
	v_bfe_u32 v20, v9, 20, 11
	s_waitcnt vmcnt(0)
	v_mad_u64_u32 v[10:11], null, s8, v26, 0
	v_mov_b32_e32 v6, v11
	v_mad_u64_u32 v[11:12], null, s9, v26, v[6:7]
	v_lshrrev_b32_e32 v12, 16, v13
	v_lshrrev_b32_e32 v26, v23, v25
	v_mul_f16_sdwa v6, v80, v19 dst_sel:DWORD dst_unused:UNUSED_PAD src0_sel:WORD_1 src1_sel:DWORD
	v_and_or_b32 v13, 0x8000, v15, v14
	v_and_or_b32 v14, 0x8000, v12, v16
	v_lshlrev_b32_e32 v12, v23, v26
	v_fmac_f16_e32 v6, v80, v0
	v_and_b32_e32 v15, 0xffff, v13
	v_lshlrev_b64 v[10:11], 2, v[10:11]
	v_mul_f16_sdwa v0, v80, v0 dst_sel:DWORD dst_unused:UNUSED_PAD src0_sel:WORD_1 src1_sel:DWORD
	v_cmp_ne_u32_e64 s0, v12, v25
	v_cvt_f32_f16_e32 v6, v6
	v_lshl_or_b32 v14, v14, 16, v15
	v_fma_f16 v0, v80, v19, -v0
	v_cndmask_b32_e64 v16, 0, 1, s0
	v_cmp_ne_u32_e64 s0, 0, v8
	v_cvt_f64_f32_e32 v[12:13], v6
	v_lshrrev_b32_e32 v8, 8, v9
	v_cvt_f32_f16_e32 v0, v0
	v_or_b32_e32 v15, v26, v16
	v_cndmask_b32_e64 v6, 0, 1, s0
	v_lshl_or_b32 v16, v17, 12, v18
	v_cmp_gt_i32_e64 s0, 1, v17
	v_and_or_b32 v8, 0xffe, v8, v6
	v_sub_nc_u32_e32 v6, 0x3f1, v20
	v_cndmask_b32_e64 v15, v16, v15, s0
	v_add_co_u32 v10, s0, v2, v10
	v_or_b32_e32 v16, 0x1000, v8
	v_med3_i32 v6, v6, 0, 13
	v_and_b32_e32 v25, 7, v15
	v_add_co_ci_u32_e64 v11, s0, v3, v11, s0
	v_lshrrev_b32_e32 v23, v6, v16
	v_cmp_lt_i32_e64 s0, 5, v25
	v_mul_f64 v[12:13], v[12:13], s[4:5]
	v_cmp_eq_u32_e64 s1, 3, v25
	global_store_dword v[10:11], v14, off
	v_lshlrev_b32_e32 v6, v6, v23
	v_lshrrev_b32_e32 v10, 2, v15
	v_add_nc_u32_e32 v14, 0xfffffc10, v20
	s_or_b32 s0, s1, s0
	v_cmp_ne_u32_e64 s2, v6, v16
	v_add_co_ci_u32_e64 v15, s0, 0, v10, s0
	v_cmp_ne_u32_e64 s0, 0, v18
	v_lshl_or_b32 v16, v14, 12, v8
	v_cndmask_b32_e64 v6, 0, 1, s2
	v_cvt_f64_f32_e32 v[10:11], v0
	v_add_co_u32 v4, s2, v4, s10
	v_cndmask_b32_e64 v18, 0, 1, s0
	v_or_b32_e32 v6, v23, v6
	v_cmp_gt_i32_e64 s0, 1, v14
	v_add_co_ci_u32_e64 v5, s2, s3, v5, s2
	v_bfe_u32 v19, v13, 20, 11
	v_cndmask_b32_e64 v0, v16, v6, s0
	v_and_or_b32 v6, 0x1ff, v13, v12
	v_cmp_gt_i32_e64 s0, 31, v17
	v_and_b32_e32 v16, 7, v0
	v_lshrrev_b32_e32 v0, 2, v0
	v_cndmask_b32_e64 v12, 0x7c00, v15, s0
	v_cmp_ne_u32_e64 s0, 0, v6
	v_lshl_or_b32 v15, v18, 9, 0x7c00
	v_lshrrev_b32_e32 v18, 8, v13
	v_cmp_eq_u32_e64 s1, 3, v16
	v_lshrrev_b32_e32 v13, 16, v13
	v_cndmask_b32_e64 v6, 0, 1, s0
	v_cmp_eq_u32_e64 s0, 0x40f, v17
	v_and_or_b32 v17, 0xffe, v18, v6
	v_sub_nc_u32_e32 v6, 0x3f1, v19
	v_cndmask_b32_e64 v12, v12, v15, s0
	v_cmp_lt_i32_e64 s0, 5, v16
	v_lshrrev_b32_e32 v15, 16, v7
	v_lshrrev_b32_e32 v16, 16, v1
	v_med3_i32 v20, v6, 0, 13
	v_mul_f64 v[6:7], v[10:11], s[4:5]
	s_or_b32 s0, s1, s0
	v_or_b32_e32 v18, 0x1000, v17
	v_add_co_ci_u32_e64 v0, s0, 0, v0, s0
	v_mul_f16_sdwa v10, v79, v16 dst_sel:DWORD dst_unused:UNUSED_PAD src0_sel:WORD_1 src1_sel:DWORD
	v_cmp_ne_u32_e64 s0, 0, v8
	v_lshrrev_b32_e32 v11, v20, v18
	v_and_or_b32 v12, 0x8000, v15, v12
	v_fmac_f16_e32 v10, v79, v1
	v_cndmask_b32_e64 v8, 0, 1, s0
	v_cmp_gt_i32_e64 s0, 31, v14
	v_lshlrev_b32_e32 v15, v20, v11
	v_mul_f16_sdwa v1, v79, v1 dst_sel:DWORD dst_unused:UNUSED_PAD src0_sel:WORD_1 src1_sel:DWORD
	v_cvt_f32_f16_e32 v10, v10
	v_lshl_or_b32 v8, v8, 9, 0x7c00
	v_cndmask_b32_e64 v0, 0x7c00, v0, s0
	v_cmp_eq_u32_e64 s0, 0x40f, v14
	v_lshrrev_b32_e32 v14, 16, v9
	v_fma_f16 v1, v79, v16, -v1
	v_and_or_b32 v6, 0x1ff, v7, v6
	v_cndmask_b32_e64 v0, v0, v8, s0
	v_cvt_f64_f32_e32 v[8:9], v10
	v_cmp_ne_u32_e64 s0, v15, v18
	v_add_nc_u32_e32 v18, 0xfffffc10, v19
	v_and_b32_e32 v10, 0xffff, v12
	v_and_or_b32 v0, 0x8000, v14, v0
	v_lshrrev_b32_e32 v14, 8, v7
	v_cndmask_b32_e64 v15, 0, 1, s0
	v_cmp_ne_u32_e64 s0, 0, v6
	v_lshl_or_b32 v12, v18, 12, v17
	v_cvt_f32_f16_e32 v19, v1
	v_or_b32_e32 v11, v11, v15
	v_cndmask_b32_e64 v6, 0, 1, s0
	v_cmp_gt_i32_e64 s0, 1, v18
	v_bfe_u32 v15, v7, 20, 11
	v_and_or_b32 v6, 0xffe, v14, v6
	v_cndmask_b32_e64 v11, v12, v11, s0
	v_sub_nc_u32_e32 v12, 0x3f1, v15
	v_lshl_or_b32 v14, v0, 16, v10
	v_add_nc_u32_e32 v15, 0xfffffc10, v15
	v_mul_f64 v[0:1], v[8:9], s[4:5]
	v_and_b32_e32 v10, 7, v11
	v_or_b32_e32 v16, 0x1000, v6
	v_med3_i32 v12, v12, 0, 13
	v_cvt_f64_f32_e32 v[8:9], v19
	v_lshl_or_b32 v19, v15, 12, v6
	v_cmp_lt_i32_e64 s0, 5, v10
	v_cmp_eq_u32_e64 s1, 3, v10
	v_lshrrev_b32_e32 v10, 2, v11
	v_lshrrev_b32_e32 v11, v12, v16
	global_store_dword v[4:5], v14, off
	s_or_b32 s0, s1, s0
	v_add_co_ci_u32_e64 v10, s0, 0, v10, s0
	v_lshlrev_b32_e32 v12, v12, v11
	v_cmp_ne_u32_e64 s0, 0, v17
	v_cndmask_b32_e64 v17, 0, 1, s0
	v_cmp_ne_u32_e64 s0, v12, v16
	v_and_or_b32 v0, 0x1ff, v1, v0
	v_lshrrev_b32_e32 v20, 8, v1
	v_mul_f64 v[8:9], v[8:9], s[4:5]
	v_lshl_or_b32 v17, v17, 9, 0x7c00
	v_cndmask_b32_e64 v12, 0, 1, s0
	v_cmp_gt_i32_e64 s0, 31, v18
	v_bfe_u32 v23, v1, 20, 11
	v_lshrrev_b32_e32 v1, 16, v1
	v_or_b32_e32 v12, v11, v12
	v_cndmask_b32_e64 v16, 0x7c00, v10, s0
	v_cmp_ne_u32_e64 s0, 0, v0
	ds_read2_b32 v[10:11], v24 offset0:32 offset1:56
	v_cndmask_b32_e64 v0, 0, 1, s0
	v_cmp_gt_i32_e64 s0, 1, v15
	v_and_or_b32 v0, 0xffe, v20, v0
	v_cndmask_b32_e64 v12, v19, v12, s0
	v_cmp_eq_u32_e64 s0, 0x40f, v18
	v_and_or_b32 v8, 0x1ff, v9, v8
	v_lshrrev_b32_e32 v20, 8, v9
	v_or_b32_e32 v14, 0x1000, v0
	v_and_b32_e32 v18, 7, v12
	v_cndmask_b32_e64 v16, v16, v17, s0
	v_sub_nc_u32_e32 v17, 0x3f1, v23
	v_lshrrev_b32_e32 v12, 2, v12
	v_bfe_u32 v25, v9, 20, 11
	v_cmp_lt_i32_e64 s0, 5, v18
	v_cmp_eq_u32_e64 s1, 3, v18
	v_med3_i32 v17, v17, 0, 13
	v_and_or_b32 v16, 0x8000, v13, v16
	s_waitcnt lgkmcnt(0)
	v_lshrrev_b32_e32 v18, 16, v10
	v_lshrrev_b32_e32 v9, 16, v9
	s_or_b32 s0, s1, s0
	v_lshrrev_b32_e32 v13, v17, v14
	v_add_co_ci_u32_e64 v19, s0, 0, v12, s0
	v_cmp_ne_u32_e64 s0, 0, v8
	v_mul_f16_sdwa v12, v77, v18 dst_sel:DWORD dst_unused:UNUSED_PAD src0_sel:WORD_1 src1_sel:DWORD
	v_lshlrev_b32_e32 v17, v17, v13
	v_and_b32_e32 v16, 0xffff, v16
	v_cndmask_b32_e64 v8, 0, 1, s0
	v_fmac_f16_e32 v12, v77, v10
	v_cmp_ne_u32_e64 s0, v17, v14
	v_add_nc_u32_e32 v17, 0xfffffc10, v23
	v_mul_f16_sdwa v10, v77, v10 dst_sel:DWORD dst_unused:UNUSED_PAD src0_sel:WORD_1 src1_sel:DWORD
	v_and_or_b32 v8, 0xffe, v20, v8
	v_sub_nc_u32_e32 v20, 0x3f1, v25
	v_cndmask_b32_e64 v14, 0, 1, s0
	v_cmp_ne_u32_e64 s0, 0, v6
	v_cvt_f32_f16_e32 v12, v12
	v_lshl_or_b32 v23, v17, 12, v0
	v_or_b32_e32 v26, 0x1000, v8
	v_or_b32_e32 v14, v13, v14
	v_med3_i32 v20, v20, 0, 13
	v_cndmask_b32_e64 v6, 0, 1, s0
	v_cmp_gt_i32_e64 s0, 1, v17
	v_cvt_f64_f32_e32 v[12:13], v12
	v_lshl_or_b32 v6, v6, 9, 0x7c00
	v_cndmask_b32_e64 v14, v23, v14, s0
	v_lshrrev_b32_e32 v23, v20, v26
	v_cmp_gt_i32_e64 s0, 31, v15
	v_and_b32_e32 v27, 7, v14
	v_lshlrev_b32_e32 v20, v20, v23
	v_cndmask_b32_e64 v19, 0x7c00, v19, s0
	v_cmp_eq_u32_e64 s0, 0x40f, v15
	v_lshrrev_b32_e32 v14, 2, v14
	v_cmp_ne_u32_e64 s1, v20, v26
	v_add_nc_u32_e32 v20, 0xfffffc10, v25
	v_cndmask_b32_e64 v15, v19, v6, s0
	v_fma_f16 v6, v77, v18, -v10
	v_cmp_lt_i32_e64 s0, 5, v27
	v_cndmask_b32_e64 v18, 0, 1, s1
	v_cmp_eq_u32_e64 s1, 3, v27
	v_lshrrev_b32_e32 v10, 16, v7
	v_cvt_f32_f16_e32 v19, v6
	v_mul_f64 v[6:7], v[12:13], s[4:5]
	v_or_b32_e32 v18, v23, v18
	s_or_b32 s0, s1, s0
	v_and_or_b32 v10, 0x8000, v10, v15
	v_cvt_f64_f32_e32 v[12:13], v19
	v_add_co_ci_u32_e64 v14, s0, 0, v14, s0
	v_cmp_ne_u32_e64 s0, 0, v0
	v_lshl_or_b32 v19, v20, 12, v8
	v_cndmask_b32_e64 v0, 0, 1, s0
	v_cmp_gt_i32_e64 s0, 1, v20
	v_lshl_or_b32 v0, v0, 9, 0x7c00
	v_cndmask_b32_e64 v18, v19, v18, s0
	v_cmp_gt_i32_e64 s0, 31, v17
	v_lshl_or_b32 v19, v10, 16, v16
	v_and_or_b32 v6, 0x1ff, v7, v6
	v_and_b32_e32 v15, 7, v18
	v_cndmask_b32_e64 v14, 0x7c00, v14, s0
	v_cmp_eq_u32_e64 s0, 0x40f, v17
	v_mul_f64 v[12:13], v[12:13], s[4:5]
	v_cmp_ne_u32_e64 s2, 0, v6
	v_cmp_eq_u32_e64 s1, 3, v15
	v_bfe_u32 v17, v7, 20, 11
	v_cndmask_b32_e64 v0, v14, v0, s0
	v_cmp_lt_i32_e64 s0, 5, v15
	v_lshrrev_b32_e32 v14, 2, v18
	v_cndmask_b32_e64 v6, 0, 1, s2
	v_lshrrev_b32_e32 v15, 8, v7
	v_and_or_b32 v0, 0x8000, v1, v0
	s_or_b32 s0, s1, s0
	v_add_co_ci_u32_e64 v14, s0, 0, v14, s0
	v_cmp_ne_u32_e64 s0, 0, v8
	v_and_or_b32 v6, 0xffe, v15, v6
	v_sub_nc_u32_e32 v15, 0x3f1, v17
	v_add_nc_u32_e32 v17, 0xfffffc10, v17
	v_and_b32_e32 v0, 0xffff, v0
	v_cndmask_b32_e64 v8, 0, 1, s0
	v_cmp_gt_i32_e64 s0, 31, v20
	v_or_b32_e32 v18, 0x1000, v6
	v_med3_i32 v15, v15, 0, 13
	v_and_or_b32 v10, 0x1ff, v13, v12
	v_lshl_or_b32 v8, v8, 9, 0x7c00
	v_cndmask_b32_e64 v14, 0x7c00, v14, s0
	v_cmp_eq_u32_e64 s0, 0x40f, v20
	v_lshrrev_b32_e32 v12, 16, v11
	v_cmp_eq_u32_e64 s2, 0x40f, v17
	v_cndmask_b32_e64 v8, v14, v8, s0
	v_lshrrev_b32_e32 v14, v15, v18
	v_cmp_ne_u32_e64 s0, 0, v10
	v_lshrrev_b32_e32 v10, 8, v13
	v_mul_f16_sdwa v16, v76, v12 dst_sel:DWORD dst_unused:UNUSED_PAD src0_sel:WORD_1 src1_sel:DWORD
	v_and_or_b32 v1, 0x8000, v9, v8
	v_lshlrev_b32_e32 v8, v15, v14
	v_cndmask_b32_e64 v9, 0, 1, s0
	v_bfe_u32 v15, v13, 20, 11
	v_fmac_f16_e32 v16, v76, v11
	v_lshl_or_b32 v23, v1, 16, v0
	v_cmp_ne_u32_e64 s0, v8, v18
	v_and_or_b32 v18, 0xffe, v10, v9
	v_sub_nc_u32_e32 v9, 0x3f1, v15
	v_lshl_or_b32 v10, v17, 12, v6
	v_cvt_f32_f16_e32 v16, v16
	v_cndmask_b32_e64 v8, 0, 1, s0
	v_cmp_gt_i32_e64 s0, 1, v17
	v_med3_i32 v20, v9, 0, 13
	v_mul_f16_sdwa v11, v76, v11 dst_sel:DWORD dst_unused:UNUSED_PAD src0_sel:WORD_1 src1_sel:DWORD
	v_or_b32_e32 v8, v14, v8
	v_or_b32_e32 v14, 0x1000, v18
	v_fma_f16 v12, v76, v12, -v11
	v_cndmask_b32_e64 v10, v10, v8, s0
	v_cvt_f64_f32_e32 v[8:9], v16
	v_lshrrev_b32_e32 v16, v20, v14
	v_add_co_u32 v4, s0, v4, s6
	v_add_co_ci_u32_e64 v5, s0, s7, v5, s0
	v_lshlrev_b32_e32 v20, v20, v16
	v_add_co_u32 v0, s0, v4, s6
	v_add_co_ci_u32_e64 v1, s0, s7, v5, s0
	v_and_b32_e32 v25, 7, v10
	v_cmp_ne_u32_e64 s0, v20, v14
	v_lshrrev_b32_e32 v10, 2, v10
	v_add_nc_u32_e32 v20, 0xfffffc10, v15
	v_cvt_f32_f16_e32 v12, v12
	v_cmp_eq_u32_e64 s1, 3, v25
	v_cndmask_b32_e64 v14, 0, 1, s0
	v_cmp_lt_i32_e64 s0, 5, v25
	v_lshl_or_b32 v15, v20, 12, v18
	v_or_b32_e32 v14, v16, v14
	s_or_b32 s0, s1, s0
	v_mul_f64 v[8:9], v[8:9], s[4:5]
	v_add_co_ci_u32_e64 v16, s0, 0, v10, s0
	v_cmp_gt_i32_e64 s0, 1, v20
	ds_read2_b32 v[10:11], v24 offset0:80 offset1:104
	global_store_dword v[4:5], v19, off
	global_store_dword v[0:1], v23, off
	v_cndmask_b32_e64 v25, v15, v14, s0
	v_cmp_ne_u32_e64 s0, 0, v6
	v_cvt_f64_f32_e32 v[14:15], v12
	v_and_b32_e32 v26, 7, v25
	v_cndmask_b32_e64 v6, 0, 1, s0
	v_cmp_gt_i32_e64 s0, 31, v17
	v_cmp_eq_u32_e64 s1, 3, v26
	v_lshl_or_b32 v6, v6, 9, 0x7c00
	v_cndmask_b32_e64 v16, 0x7c00, v16, s0
	v_cmp_lt_i32_e64 s0, 5, v26
	v_lshrrev_b32_e32 v26, 8, v9
	v_bfe_u32 v27, v9, 20, 11
	v_cndmask_b32_e64 v12, v16, v6, s2
	v_lshrrev_b32_e32 v6, 2, v25
	s_or_b32 s0, s1, s0
	v_lshrrev_b32_e32 v25, 16, v7
	v_and_or_b32 v7, 0x1ff, v9, v8
	v_add_co_ci_u32_e64 v8, s0, 0, v6, s0
	v_cmp_ne_u32_e64 s0, 0, v18
	s_waitcnt lgkmcnt(0)
	v_lshrrev_b32_e32 v18, 16, v10
	v_mul_f64 v[14:15], v[14:15], s[4:5]
	v_and_or_b32 v5, 0x8000, v25, v12
	v_cndmask_b32_e64 v16, 0, 1, s0
	v_cmp_ne_u32_e64 s0, 0, v7
	v_mul_f16_sdwa v28, v75, v18 dst_sel:DWORD dst_unused:UNUSED_PAD src0_sel:WORD_1 src1_sel:DWORD
	v_mad_u64_u32 v[6:7], null, s8, v31, 0
	v_lshl_or_b32 v16, v16, 9, 0x7c00
	v_cndmask_b32_e64 v17, 0, 1, s0
	v_fmac_f16_e32 v28, v75, v10
	v_cmp_gt_i32_e64 s0, 31, v20
	v_mul_f16_sdwa v10, v75, v10 dst_sel:DWORD dst_unused:UNUSED_PAD src0_sel:WORD_1 src1_sel:DWORD
	v_and_or_b32 v26, 0xffe, v26, v17
	v_sub_nc_u32_e32 v17, 0x3f1, v27
	v_cndmask_b32_e64 v8, 0x7c00, v8, s0
	v_cmp_eq_u32_e64 s0, 0x40f, v20
	v_fma_f16 v10, v75, v18, -v10
	v_or_b32_e32 v29, 0x1000, v26
	v_med3_i32 v30, v17, 0, 13
	v_cvt_f32_f16_e32 v17, v28
	v_cndmask_b32_e64 v20, v8, v16, s0
	v_and_or_b32 v12, 0x1ff, v15, v14
	v_mad_u64_u32 v[7:8], null, s9, v31, v[7:8]
	v_lshrrev_b32_e32 v28, v30, v29
	v_cvt_f64_f32_e32 v[16:17], v17
	v_lshrrev_b32_e32 v8, 16, v13
	v_lshrrev_b32_e32 v13, 8, v15
	v_bfe_u32 v19, v15, 20, 11
	v_lshlrev_b32_e32 v4, v30, v28
	v_add_nc_u32_e32 v14, 0xfffffc10, v27
	v_and_or_b32 v8, 0x8000, v8, v20
	v_and_b32_e32 v20, 0xffff, v5
	v_lshlrev_b64 v[6:7], 2, v[6:7]
	v_cmp_ne_u32_e64 s0, v4, v29
	v_lshl_or_b32 v25, v14, 12, v26
	v_cvt_f32_f16_e32 v10, v10
	v_lshl_or_b32 v8, v8, 16, v20
	v_lshrrev_b32_e32 v15, 16, v15
	v_cndmask_b32_e64 v4, 0, 1, s0
	v_cmp_ne_u32_e64 s0, 0, v12
	v_or_b32_e32 v23, v28, v4
	v_cndmask_b32_e64 v12, 0, 1, s0
	v_cmp_gt_i32_e64 s0, 1, v14
	v_mul_f64 v[4:5], v[16:17], s[4:5]
	v_and_or_b32 v27, 0xffe, v13, v12
	v_sub_nc_u32_e32 v12, 0x3f1, v19
	v_cndmask_b32_e64 v13, v25, v23, s0
	v_add_co_u32 v6, s0, v2, v6
	v_or_b32_e32 v16, 0x1000, v27
	v_med3_i32 v12, v12, 0, 13
	v_and_b32_e32 v17, 7, v13
	v_add_co_ci_u32_e64 v7, s0, v3, v7, s0
	v_lshrrev_b32_e32 v13, 2, v13
	v_lshrrev_b32_e32 v20, v12, v16
	v_cmp_lt_i32_e64 s0, 5, v17
	v_cmp_eq_u32_e64 s1, 3, v17
	global_store_dword v[6:7], v8, off
	v_lshlrev_b32_e32 v12, v12, v20
	s_or_b32 s0, s1, s0
	v_and_or_b32 v4, 0x1ff, v5, v4
	v_add_co_ci_u32_e64 v17, s0, 0, v13, s0
	v_cmp_ne_u32_e64 s2, v12, v16
	v_add_nc_u32_e32 v16, 0xfffffc10, v19
	v_cmp_ne_u32_e64 s0, 0, v4
	v_cndmask_b32_e64 v12, 0, 1, s2
	v_lshl_or_b32 v19, v16, 12, v27
	v_cndmask_b32_e64 v4, 0, 1, s0
	v_cmp_ne_u32_e64 s0, 0, v26
	v_or_b32_e32 v18, v20, v12
	v_cvt_f64_f32_e32 v[12:13], v10
	v_lshrrev_b32_e32 v10, 8, v5
	v_cndmask_b32_e64 v23, 0, 1, s0
	v_cmp_gt_i32_e64 s0, 1, v16
	v_bfe_u32 v20, v5, 20, 11
	v_lshrrev_b32_e32 v5, 16, v5
	v_and_or_b32 v4, 0xffe, v10, v4
	v_cndmask_b32_e64 v18, v19, v18, s0
	v_cmp_gt_i32_e64 s0, 31, v14
	v_sub_nc_u32_e32 v10, 0x3f1, v20
	v_lshl_or_b32 v19, v23, 9, 0x7c00
	v_or_b32_e32 v25, 0x1000, v4
	v_and_b32_e32 v23, 7, v18
	v_cndmask_b32_e64 v17, 0x7c00, v17, s0
	v_cmp_eq_u32_e64 s0, 0x40f, v14
	v_med3_i32 v10, v10, 0, 13
	v_cmp_eq_u32_e64 s1, 3, v23
	v_cndmask_b32_e64 v14, v17, v19, s0
	v_cmp_lt_i32_e64 s0, 5, v23
	v_mul_f64 v[6:7], v[12:13], s[4:5]
	v_lshrrev_b32_e32 v12, 16, v9
	v_lshrrev_b32_e32 v9, 2, v18
	;; [unrolled: 1-line block ×3, first 2 shown]
	s_or_b32 s0, s1, s0
	v_lshrrev_b32_e32 v17, 16, v11
	v_add_nc_u32_e32 v19, 0xfffffc10, v20
	v_add_co_ci_u32_e64 v9, s0, 0, v9, s0
	v_lshlrev_b32_e32 v10, v10, v8
	v_cmp_ne_u32_e64 s0, 0, v27
	v_mul_f16_sdwa v13, v74, v17 dst_sel:DWORD dst_unused:UNUSED_PAD src0_sel:WORD_1 src1_sel:DWORD
	v_and_or_b32 v12, 0x8000, v12, v14
	v_cndmask_b32_e64 v18, 0, 1, s0
	v_cmp_ne_u32_e64 s0, v10, v25
	v_fmac_f16_e32 v13, v74, v11
	v_and_b32_e32 v12, 0xffff, v12
	v_mul_f16_sdwa v11, v74, v11 dst_sel:DWORD dst_unused:UNUSED_PAD src0_sel:WORD_1 src1_sel:DWORD
	v_lshl_or_b32 v18, v18, 9, 0x7c00
	v_cndmask_b32_e64 v10, 0, 1, s0
	v_cmp_gt_i32_e64 s0, 31, v16
	v_cvt_f32_f16_e32 v13, v13
	v_and_or_b32 v6, 0x1ff, v7, v6
	v_fma_f16 v11, v74, v17, -v11
	v_or_b32_e32 v10, v8, v10
	v_cndmask_b32_e64 v20, 0x7c00, v9, s0
	v_cmp_eq_u32_e64 s0, 0x40f, v16
	v_cvt_f64_f32_e32 v[8:9], v13
	v_lshl_or_b32 v13, v19, 12, v4
	v_cndmask_b32_e64 v16, v20, v18, s0
	v_cmp_gt_i32_e64 s0, 1, v19
	v_bfe_u32 v18, v7, 20, 11
	v_and_or_b32 v15, 0x8000, v15, v16
	v_cndmask_b32_e64 v10, v13, v10, s0
	v_cmp_ne_u32_e64 s0, 0, v6
	v_lshrrev_b32_e32 v13, 8, v7
	v_and_b32_e32 v14, 7, v10
	v_cndmask_b32_e64 v6, 0, 1, s0
	v_lshrrev_b32_e32 v10, 2, v10
	v_cmp_lt_i32_e64 s0, 5, v14
	v_and_or_b32 v6, 0xffe, v13, v6
	v_sub_nc_u32_e32 v13, 0x3f1, v18
	v_cmp_eq_u32_e64 s1, 3, v14
	v_lshl_or_b32 v14, v15, 16, v12
	v_mul_f64 v[8:9], v[8:9], s[4:5]
	v_or_b32_e32 v16, 0x1000, v6
	v_med3_i32 v13, v13, 0, 13
	s_or_b32 s0, s1, s0
	ds_read_b32 v15, v70 offset:1536
	v_add_co_ci_u32_e64 v10, s0, 0, v10, s0
	v_lshrrev_b32_e32 v12, v13, v16
	v_cmp_ne_u32_e64 s0, 0, v4
	v_lshlrev_b32_e32 v13, v13, v12
	v_cndmask_b32_e64 v4, 0, 1, s0
	v_cmp_ne_u32_e64 s0, v13, v16
	v_add_nc_u32_e32 v16, 0xfffffc10, v18
	v_lshl_or_b32 v4, v4, 9, 0x7c00
	v_cndmask_b32_e64 v13, 0, 1, s0
	v_cmp_gt_i32_e64 s0, 31, v19
	v_and_or_b32 v8, 0x1ff, v9, v8
	s_waitcnt lgkmcnt(0)
	v_lshrrev_b32_e32 v18, 16, v15
	v_or_b32_e32 v12, v12, v13
	v_cndmask_b32_e64 v17, 0x7c00, v10, s0
	v_cmp_eq_u32_e64 s0, 0x40f, v19
	v_cvt_f32_f16_e32 v10, v11
	v_lshl_or_b32 v13, v16, 12, v6
	v_mul_f16_sdwa v20, v72, v18 dst_sel:DWORD dst_unused:UNUSED_PAD src0_sel:WORD_1 src1_sel:DWORD
	v_cndmask_b32_e64 v4, v17, v4, s0
	v_cmp_gt_i32_e64 s0, 1, v16
	v_cvt_f64_f32_e32 v[10:11], v10
	v_bfe_u32 v17, v9, 20, 11
	v_fmac_f16_e32 v20, v72, v15
	v_and_or_b32 v23, 0x8000, v5, v4
	v_cndmask_b32_e64 v12, v13, v12, s0
	v_cmp_ne_u32_e64 s0, 0, v8
	v_lshrrev_b32_e32 v13, 8, v9
	v_mul_f16_sdwa v15, v72, v15 dst_sel:DWORD dst_unused:UNUSED_PAD src0_sel:WORD_1 src1_sel:DWORD
	v_and_b32_e32 v19, 7, v12
	v_cndmask_b32_e64 v8, 0, 1, s0
	v_lshrrev_b32_e32 v12, 2, v12
	v_fma_f16 v15, v72, v18, -v15
	v_cmp_lt_i32_e64 s0, 5, v19
	v_and_or_b32 v8, 0xffe, v13, v8
	v_sub_nc_u32_e32 v13, 0x3f1, v17
	v_cmp_eq_u32_e64 s1, 3, v19
	v_add_nc_u32_e32 v17, 0xfffffc10, v17
	v_or_b32_e32 v25, 0x1000, v8
	v_med3_i32 v13, v13, 0, 13
	s_or_b32 s0, s1, s0
	v_mul_f64 v[4:5], v[10:11], s[4:5]
	v_add_co_ci_u32_e64 v12, s0, 0, v12, s0
	v_lshrrev_b32_e32 v19, v13, v25
	v_cmp_ne_u32_e64 s0, 0, v6
	v_cvt_f32_f16_e32 v10, v20
	v_and_b32_e32 v20, 0xffff, v23
	v_lshlrev_b32_e32 v13, v13, v19
	v_cndmask_b32_e64 v6, 0, 1, s0
	v_cmp_gt_i32_e64 s0, 31, v16
	v_cvt_f64_f32_e32 v[10:11], v10
	v_lshl_or_b32 v6, v6, 9, 0x7c00
	v_cndmask_b32_e64 v12, 0x7c00, v12, s0
	v_cmp_ne_u32_e64 s0, v13, v25
	v_cndmask_b32_e64 v13, 0, 1, s0
	v_cmp_eq_u32_e64 s0, 0x40f, v16
	v_and_or_b32 v4, 0x1ff, v5, v4
	v_lshrrev_b32_e32 v16, 16, v7
	v_cndmask_b32_e64 v12, v12, v6, s0
	v_or_b32_e32 v6, v19, v13
	v_lshl_or_b32 v13, v17, 12, v8
	v_cmp_gt_i32_e64 s0, 1, v17
	v_and_or_b32 v16, 0x8000, v16, v12
	v_mul_f64 v[10:11], v[10:11], s[4:5]
	v_cndmask_b32_e64 v18, v13, v6, s0
	v_cmp_ne_u32_e64 s0, 0, v4
	v_cvt_f32_f16_e32 v6, v15
	v_lshrrev_b32_e32 v13, 8, v5
	v_bfe_u32 v15, v5, 20, 11
	v_and_b32_e32 v19, 7, v18
	v_cndmask_b32_e64 v4, 0, 1, s0
	v_cvt_f64_f32_e32 v[6:7], v6
	v_lshl_or_b32 v16, v16, 16, v20
	v_sub_nc_u32_e32 v12, 0x3f1, v15
	v_cmp_lt_i32_e64 s0, 5, v19
	v_and_or_b32 v4, 0xffe, v13, v4
	v_cmp_eq_u32_e64 s1, 3, v19
	v_add_nc_u32_e32 v15, 0xfffffc10, v15
	v_med3_i32 v23, v12, 0, 13
	v_add_co_u32 v12, s2, v0, s10
	v_or_b32_e32 v19, 0x1000, v4
	v_lshrrev_b32_e32 v0, 2, v18
	s_or_b32 s0, s1, s0
	v_add_co_ci_u32_e64 v13, s2, s3, v1, s2
	v_lshrrev_b32_e32 v18, v23, v19
	v_add_co_ci_u32_e64 v20, s0, 0, v0, s0
	v_cmp_gt_i32_e64 s0, 31, v17
	v_cmp_eq_u32_e64 s2, 0x40f, v15
	v_lshlrev_b32_e32 v23, v23, v18
	v_mul_f64 v[0:1], v[6:7], s[4:5]
	v_and_or_b32 v6, 0x1ff, v11, v10
	v_cndmask_b32_e64 v7, 0x7c00, v20, s0
	v_cmp_ne_u32_e64 s0, v23, v19
	v_lshrrev_b32_e32 v19, 8, v11
	v_bfe_u32 v20, v11, 20, 11
	v_lshrrev_b32_e32 v11, 16, v11
	v_cndmask_b32_e64 v10, 0, 1, s0
	v_cmp_ne_u32_e64 s0, 0, v6
	v_or_b32_e32 v10, v18, v10
	v_cndmask_b32_e64 v6, 0, 1, s0
	v_cmp_ne_u32_e64 s0, 0, v8
	v_lshl_or_b32 v18, v15, 12, v4
	v_and_or_b32 v6, 0xffe, v19, v6
	v_cndmask_b32_e64 v8, 0, 1, s0
	v_sub_nc_u32_e32 v19, 0x3f1, v20
	v_cmp_gt_i32_e64 s0, 1, v15
	v_and_or_b32 v0, 0x1ff, v1, v0
	v_lshrrev_b32_e32 v23, 8, v1
	v_lshl_or_b32 v8, v8, 9, 0x7c00
	v_med3_i32 v19, v19, 0, 13
	v_cndmask_b32_e64 v10, v18, v10, s0
	v_or_b32_e32 v18, 0x1000, v6
	v_cmp_eq_u32_e64 s0, 0x40f, v17
	v_bfe_u32 v25, v1, 20, 11
	v_lshrrev_b32_e32 v17, v19, v18
	v_cndmask_b32_e64 v7, v7, v8, s0
	v_cmp_ne_u32_e64 s0, 0, v0
	v_lshrrev_b32_e32 v8, 16, v9
	v_and_b32_e32 v9, 7, v10
	v_lshlrev_b32_e32 v19, v19, v17
	v_cndmask_b32_e64 v0, 0, 1, s0
	v_and_or_b32 v7, 0x8000, v8, v7
	v_cmp_lt_i32_e64 s0, 5, v9
	v_cmp_ne_u32_e64 s1, v19, v18
	v_add_nc_u32_e32 v19, 0xfffffc10, v20
	v_and_or_b32 v8, 0xffe, v23, v0
	v_sub_nc_u32_e32 v0, 0x3f1, v25
	v_cndmask_b32_e64 v18, 0, 1, s1
	v_cmp_eq_u32_e64 s1, 3, v9
	v_lshrrev_b32_e32 v9, 2, v10
	v_or_b32_e32 v20, 0x1000, v8
	v_med3_i32 v0, v0, 0, 13
	v_or_b32_e32 v10, v17, v18
	s_or_b32 s0, s1, s0
	v_lshl_or_b32 v17, v19, 12, v6
	v_add_co_ci_u32_e64 v9, s0, 0, v9, s0
	v_cmp_gt_i32_e64 s0, 1, v19
	v_lshrrev_b32_e32 v18, v0, v20
	v_cndmask_b32_e64 v10, v17, v10, s0
	v_cmp_gt_i32_e64 s0, 31, v15
	v_lshlrev_b32_e32 v0, v0, v18
	v_lshrrev_b32_e32 v15, 16, v5
	v_and_b32_e32 v17, 7, v10
	v_cndmask_b32_e64 v9, 0x7c00, v9, s0
	v_cmp_ne_u32_e64 s0, 0, v4
	v_cmp_eq_u32_e64 s1, 3, v17
	v_cndmask_b32_e64 v4, 0, 1, s0
	v_cmp_ne_u32_e64 s0, v0, v20
	v_add_nc_u32_e32 v20, 0xfffffc10, v25
	v_lshl_or_b32 v4, v4, 9, 0x7c00
	v_cndmask_b32_e64 v0, 0, 1, s0
	v_cmp_lt_i32_e64 s0, 5, v17
	v_lshl_or_b32 v17, v20, 12, v8
	v_cndmask_b32_e64 v9, v9, v4, s2
	v_or_b32_e32 v0, v18, v0
	buffer_load_dword v18, off, s[20:23], 0 ; 4-byte Folded Reload
	v_lshrrev_b32_e32 v4, 2, v10
	v_cmp_gt_i32_e64 s2, 1, v20
	s_or_b32 s0, s1, s0
	v_add_co_ci_u32_e64 v4, s0, 0, v4, s0
	v_cndmask_b32_e64 v0, v17, v0, s2
	v_cmp_ne_u32_e64 s0, 0, v6
	v_cmp_eq_u32_e64 s2, 0x40f, v19
	v_and_b32_e32 v10, 7, v0
	v_cndmask_b32_e64 v6, 0, 1, s0
	v_cmp_gt_i32_e64 s0, 31, v19
	v_lshrrev_b32_e32 v0, 2, v0
	v_cmp_eq_u32_e64 s1, 3, v10
	v_lshl_or_b32 v6, v6, 9, 0x7c00
	v_cndmask_b32_e64 v17, 0x7c00, v4, s0
	v_cmp_lt_i32_e64 s0, 5, v10
	v_cndmask_b32_e64 v10, v17, v6, s2
	s_or_b32 s0, s1, s0
	v_add_co_ci_u32_e64 v6, s0, 0, v0, s0
	v_cmp_ne_u32_e64 s0, 0, v8
	v_and_or_b32 v10, 0x8000, v11, v10
	v_cndmask_b32_e64 v8, 0, 1, s0
	v_cmp_gt_i32_e64 s0, 31, v20
	v_and_b32_e32 v10, 0xffff, v10
	v_cndmask_b32_e64 v17, 0x7c00, v6, s0
	v_cmp_eq_u32_e64 s0, 0x40f, v20
	s_waitcnt vmcnt(0)
	v_mad_u64_u32 v[4:5], null, s8, v18, 0
	v_mov_b32_e32 v0, v5
	v_mad_u64_u32 v[5:6], null, s9, v18, v[0:1]
	v_lshl_or_b32 v0, v8, 9, 0x7c00
	v_and_or_b32 v8, 0x8000, v15, v9
	v_and_b32_e32 v9, 0xffff, v7
	v_lshrrev_b32_e32 v1, 16, v1
	v_cndmask_b32_e64 v0, v17, v0, s0
	v_add_co_u32 v6, s0, v12, s6
	v_add_co_ci_u32_e64 v7, s0, s7, v13, s0
	v_lshlrev_b64 v[4:5], 2, v[4:5]
	v_lshl_or_b32 v8, v8, 16, v9
	v_and_or_b32 v9, 0x8000, v1, v0
	v_add_co_u32 v0, s0, v6, s6
	v_add_co_ci_u32_e64 v1, s0, s7, v7, s0
	v_add_co_u32 v2, s0, v2, v4
	v_lshl_or_b32 v9, v9, 16, v10
	v_add_co_ci_u32_e64 v3, s0, v3, v5, s0
	global_store_dword v[12:13], v14, off
	global_store_dword v[6:7], v16, off
	;; [unrolled: 1-line block ×4, first 2 shown]
	s_and_b32 exec_lo, exec_lo, vcc_lo
	s_cbranch_execz .LBB0_15
; %bb.14:
	global_load_dword v4, v[21:22], off offset:68
	ds_read2_b32 v[2:3], v70 offset0:17 offset1:41
	v_mad_u64_u32 v[0:1], null, 0xfffffaa4, s8, v[0:1]
	s_waitcnt lgkmcnt(0)
	v_lshrrev_b32_e32 v5, 16, v2
	s_waitcnt vmcnt(0)
	v_mul_f16_sdwa v6, v5, v4 dst_sel:DWORD dst_unused:UNUSED_PAD src0_sel:DWORD src1_sel:WORD_1
	v_mul_f16_sdwa v7, v2, v4 dst_sel:DWORD dst_unused:UNUSED_PAD src0_sel:DWORD src1_sel:WORD_1
	v_fmac_f16_e32 v6, v2, v4
	v_fma_f16 v2, v4, v5, -v7
	v_cvt_f32_f16_e32 v4, v6
	v_cvt_f32_f16_e32 v2, v2
	v_cvt_f64_f32_e32 v[4:5], v4
	v_cvt_f64_f32_e32 v[6:7], v2
	v_mul_f64 v[4:5], v[4:5], s[4:5]
	v_mul_f64 v[6:7], v[6:7], s[4:5]
	v_and_or_b32 v2, 0x1ff, v5, v4
	v_and_or_b32 v6, 0x1ff, v7, v6
	v_lshrrev_b32_e32 v4, 8, v5
	v_bfe_u32 v8, v5, 20, 11
	v_lshrrev_b32_e32 v9, 8, v7
	v_cmp_ne_u32_e32 vcc_lo, 0, v2
	v_bfe_u32 v10, v7, 20, 11
	v_lshrrev_b32_e32 v5, 16, v5
	v_sub_nc_u32_e32 v11, 0x3f1, v8
	v_add_nc_u32_e32 v8, 0xfffffc10, v8
	v_cndmask_b32_e64 v2, 0, 1, vcc_lo
	v_cmp_ne_u32_e32 vcc_lo, 0, v6
	v_lshrrev_b32_e32 v7, 16, v7
	v_and_or_b32 v2, 0xffe, v4, v2
	v_cndmask_b32_e64 v6, 0, 1, vcc_lo
	v_sub_nc_u32_e32 v4, 0x3f1, v10
	v_add_nc_u32_e32 v10, 0xfffffc10, v10
	v_and_or_b32 v6, 0xffe, v9, v6
	v_med3_i32 v9, v11, 0, 13
	v_or_b32_e32 v11, 0x1000, v2
	v_med3_i32 v4, v4, 0, 13
	v_or_b32_e32 v12, 0x1000, v6
	v_lshrrev_b32_e32 v13, v9, v11
	v_lshrrev_b32_e32 v14, v4, v12
	v_lshlrev_b32_e32 v9, v9, v13
	v_lshlrev_b32_e32 v4, v4, v14
	v_cmp_ne_u32_e32 vcc_lo, v9, v11
	v_lshl_or_b32 v11, v8, 12, v2
	v_cndmask_b32_e64 v9, 0, 1, vcc_lo
	v_cmp_ne_u32_e32 vcc_lo, v4, v12
	v_lshl_or_b32 v12, v10, 12, v6
	v_or_b32_e32 v9, v13, v9
	v_cndmask_b32_e64 v4, 0, 1, vcc_lo
	v_cmp_gt_i32_e32 vcc_lo, 1, v8
	v_or_b32_e32 v4, v14, v4
	v_cndmask_b32_e32 v9, v11, v9, vcc_lo
	v_cmp_gt_i32_e32 vcc_lo, 1, v10
	v_and_b32_e32 v11, 7, v9
	v_cndmask_b32_e32 v4, v12, v4, vcc_lo
	v_cmp_ne_u32_e32 vcc_lo, 0, v2
	v_lshrrev_b32_e32 v9, 2, v9
	v_cmp_eq_u32_e64 s0, 3, v11
	v_and_b32_e32 v12, 7, v4
	v_cndmask_b32_e64 v2, 0, 1, vcc_lo
	v_cmp_ne_u32_e32 vcc_lo, 0, v6
	v_lshrrev_b32_e32 v4, 2, v4
	v_cmp_lt_i32_e64 s1, 5, v12
	v_cmp_eq_u32_e64 s2, 3, v12
	v_cndmask_b32_e64 v6, 0, 1, vcc_lo
	v_cmp_lt_i32_e32 vcc_lo, 5, v11
	v_lshl_or_b32 v2, v2, 9, 0x7c00
	v_lshl_or_b32 v6, v6, 9, 0x7c00
	s_or_b32 vcc_lo, s0, vcc_lo
	s_mul_i32 s0, s9, 0xfffffaa4
	v_add_co_ci_u32_e32 v9, vcc_lo, 0, v9, vcc_lo
	s_or_b32 vcc_lo, s2, s1
	s_sub_i32 s0, s0, s8
	v_add_co_ci_u32_e32 v4, vcc_lo, 0, v4, vcc_lo
	v_cmp_gt_i32_e32 vcc_lo, 31, v8
	v_add_nc_u32_e32 v1, s0, v1
	v_cndmask_b32_e32 v9, 0x7c00, v9, vcc_lo
	v_cmp_gt_i32_e32 vcc_lo, 31, v10
	v_cndmask_b32_e32 v4, 0x7c00, v4, vcc_lo
	v_cmp_eq_u32_e32 vcc_lo, 0x40f, v8
	v_cndmask_b32_e32 v2, v9, v2, vcc_lo
	v_cmp_eq_u32_e32 vcc_lo, 0x40f, v10
	v_and_or_b32 v2, 0x8000, v5, v2
	v_cndmask_b32_e32 v4, v4, v6, vcc_lo
	v_and_b32_e32 v2, 0xffff, v2
	v_and_or_b32 v4, 0x8000, v7, v4
	v_lshl_or_b32 v2, v4, 16, v2
	v_lshrrev_b32_e32 v4, 16, v3
	global_store_dword v[0:1], v2, off
	global_load_dword v2, v[21:22], off offset:164
	s_waitcnt vmcnt(0)
	v_mul_f16_sdwa v5, v4, v2 dst_sel:DWORD dst_unused:UNUSED_PAD src0_sel:DWORD src1_sel:WORD_1
	v_mul_f16_sdwa v6, v3, v2 dst_sel:DWORD dst_unused:UNUSED_PAD src0_sel:DWORD src1_sel:WORD_1
	v_fmac_f16_e32 v5, v3, v2
	v_fma_f16 v2, v2, v4, -v6
	v_cvt_f32_f16_e32 v3, v5
	v_cvt_f32_f16_e32 v4, v2
	v_cvt_f64_f32_e32 v[2:3], v3
	v_cvt_f64_f32_e32 v[4:5], v4
	v_mul_f64 v[2:3], v[2:3], s[4:5]
	v_mul_f64 v[4:5], v[4:5], s[4:5]
	v_and_or_b32 v2, 0x1ff, v3, v2
	v_and_or_b32 v4, 0x1ff, v5, v4
	v_lshrrev_b32_e32 v6, 8, v3
	v_bfe_u32 v7, v3, 20, 11
	v_lshrrev_b32_e32 v8, 8, v5
	v_cmp_ne_u32_e32 vcc_lo, 0, v2
	v_bfe_u32 v9, v5, 20, 11
	v_lshrrev_b32_e32 v3, 16, v3
	v_sub_nc_u32_e32 v10, 0x3f1, v7
	v_add_nc_u32_e32 v7, 0xfffffc10, v7
	v_cndmask_b32_e64 v2, 0, 1, vcc_lo
	v_cmp_ne_u32_e32 vcc_lo, 0, v4
	v_lshrrev_b32_e32 v5, 16, v5
	v_and_or_b32 v2, 0xffe, v6, v2
	v_cndmask_b32_e64 v4, 0, 1, vcc_lo
	v_sub_nc_u32_e32 v6, 0x3f1, v9
	v_add_nc_u32_e32 v9, 0xfffffc10, v9
	v_and_or_b32 v4, 0xffe, v8, v4
	v_med3_i32 v8, v10, 0, 13
	v_or_b32_e32 v10, 0x1000, v2
	v_med3_i32 v6, v6, 0, 13
	v_or_b32_e32 v11, 0x1000, v4
	v_lshrrev_b32_e32 v12, v8, v10
	v_lshrrev_b32_e32 v13, v6, v11
	v_lshlrev_b32_e32 v8, v8, v12
	v_lshlrev_b32_e32 v6, v6, v13
	v_cmp_ne_u32_e32 vcc_lo, v8, v10
	v_lshl_or_b32 v10, v7, 12, v2
	v_cndmask_b32_e64 v8, 0, 1, vcc_lo
	v_cmp_ne_u32_e32 vcc_lo, v6, v11
	v_lshl_or_b32 v11, v9, 12, v4
	v_or_b32_e32 v8, v12, v8
	v_cndmask_b32_e64 v6, 0, 1, vcc_lo
	v_cmp_gt_i32_e32 vcc_lo, 1, v7
	v_or_b32_e32 v6, v13, v6
	v_cndmask_b32_e32 v8, v10, v8, vcc_lo
	v_cmp_gt_i32_e32 vcc_lo, 1, v9
	v_and_b32_e32 v10, 7, v8
	v_cndmask_b32_e32 v6, v11, v6, vcc_lo
	v_cmp_ne_u32_e32 vcc_lo, 0, v2
	v_lshrrev_b32_e32 v8, 2, v8
	v_cmp_eq_u32_e64 s0, 3, v10
	v_and_b32_e32 v11, 7, v6
	v_cndmask_b32_e64 v2, 0, 1, vcc_lo
	v_cmp_ne_u32_e32 vcc_lo, 0, v4
	v_lshrrev_b32_e32 v6, 2, v6
	v_cmp_lt_i32_e64 s1, 5, v11
	v_cmp_eq_u32_e64 s2, 3, v11
	v_cndmask_b32_e64 v4, 0, 1, vcc_lo
	v_cmp_lt_i32_e32 vcc_lo, 5, v10
	v_lshl_or_b32 v2, v2, 9, 0x7c00
	v_lshl_or_b32 v4, v4, 9, 0x7c00
	s_or_b32 vcc_lo, s0, vcc_lo
	v_add_co_ci_u32_e32 v8, vcc_lo, 0, v8, vcc_lo
	s_or_b32 vcc_lo, s2, s1
	v_add_co_ci_u32_e32 v6, vcc_lo, 0, v6, vcc_lo
	v_cmp_gt_i32_e32 vcc_lo, 31, v7
	v_cndmask_b32_e32 v8, 0x7c00, v8, vcc_lo
	v_cmp_gt_i32_e32 vcc_lo, 31, v9
	v_cndmask_b32_e32 v6, 0x7c00, v6, vcc_lo
	v_cmp_eq_u32_e32 vcc_lo, 0x40f, v7
	v_cndmask_b32_e32 v2, v8, v2, vcc_lo
	v_cmp_eq_u32_e32 vcc_lo, 0x40f, v9
	v_and_or_b32 v2, 0x8000, v3, v2
	v_cndmask_b32_e32 v4, v6, v4, vcc_lo
	v_add_co_u32 v0, vcc_lo, v0, s6
	v_add_co_ci_u32_e32 v1, vcc_lo, s7, v1, vcc_lo
	v_and_or_b32 v3, 0x8000, v5, v4
	v_and_b32_e32 v2, 0xffff, v2
	v_lshl_or_b32 v2, v3, 16, v2
	global_store_dword v[0:1], v2, off
	global_load_dword v4, v[21:22], off offset:260
	ds_read2_b32 v[2:3], v70 offset0:65 offset1:89
	s_waitcnt lgkmcnt(0)
	v_lshrrev_b32_e32 v5, 16, v2
	s_waitcnt vmcnt(0)
	v_mul_f16_sdwa v6, v5, v4 dst_sel:DWORD dst_unused:UNUSED_PAD src0_sel:DWORD src1_sel:WORD_1
	v_mul_f16_sdwa v7, v2, v4 dst_sel:DWORD dst_unused:UNUSED_PAD src0_sel:DWORD src1_sel:WORD_1
	v_fmac_f16_e32 v6, v2, v4
	v_fma_f16 v2, v4, v5, -v7
	v_cvt_f32_f16_e32 v4, v6
	v_cvt_f32_f16_e32 v2, v2
	v_cvt_f64_f32_e32 v[4:5], v4
	v_cvt_f64_f32_e32 v[6:7], v2
	v_mul_f64 v[4:5], v[4:5], s[4:5]
	v_mul_f64 v[6:7], v[6:7], s[4:5]
	v_and_or_b32 v2, 0x1ff, v5, v4
	v_and_or_b32 v6, 0x1ff, v7, v6
	v_lshrrev_b32_e32 v4, 8, v5
	v_bfe_u32 v8, v5, 20, 11
	v_lshrrev_b32_e32 v9, 8, v7
	v_cmp_ne_u32_e32 vcc_lo, 0, v2
	v_bfe_u32 v10, v7, 20, 11
	v_lshrrev_b32_e32 v5, 16, v5
	v_sub_nc_u32_e32 v11, 0x3f1, v8
	v_add_nc_u32_e32 v8, 0xfffffc10, v8
	v_cndmask_b32_e64 v2, 0, 1, vcc_lo
	v_cmp_ne_u32_e32 vcc_lo, 0, v6
	v_lshrrev_b32_e32 v7, 16, v7
	v_and_or_b32 v2, 0xffe, v4, v2
	v_cndmask_b32_e64 v6, 0, 1, vcc_lo
	v_sub_nc_u32_e32 v4, 0x3f1, v10
	v_add_nc_u32_e32 v10, 0xfffffc10, v10
	v_and_or_b32 v6, 0xffe, v9, v6
	v_med3_i32 v9, v11, 0, 13
	v_or_b32_e32 v11, 0x1000, v2
	v_med3_i32 v4, v4, 0, 13
	v_or_b32_e32 v12, 0x1000, v6
	v_lshrrev_b32_e32 v13, v9, v11
	v_lshrrev_b32_e32 v14, v4, v12
	v_lshlrev_b32_e32 v9, v9, v13
	v_lshlrev_b32_e32 v4, v4, v14
	v_cmp_ne_u32_e32 vcc_lo, v9, v11
	v_lshl_or_b32 v11, v8, 12, v2
	v_cndmask_b32_e64 v9, 0, 1, vcc_lo
	v_cmp_ne_u32_e32 vcc_lo, v4, v12
	v_lshl_or_b32 v12, v10, 12, v6
	v_or_b32_e32 v9, v13, v9
	v_cndmask_b32_e64 v4, 0, 1, vcc_lo
	v_cmp_gt_i32_e32 vcc_lo, 1, v8
	v_or_b32_e32 v4, v14, v4
	v_cndmask_b32_e32 v9, v11, v9, vcc_lo
	v_cmp_gt_i32_e32 vcc_lo, 1, v10
	v_and_b32_e32 v11, 7, v9
	v_cndmask_b32_e32 v4, v12, v4, vcc_lo
	v_cmp_ne_u32_e32 vcc_lo, 0, v2
	v_lshrrev_b32_e32 v9, 2, v9
	v_cmp_eq_u32_e64 s0, 3, v11
	v_and_b32_e32 v12, 7, v4
	v_cndmask_b32_e64 v2, 0, 1, vcc_lo
	v_cmp_ne_u32_e32 vcc_lo, 0, v6
	v_lshrrev_b32_e32 v4, 2, v4
	v_cmp_lt_i32_e64 s1, 5, v12
	v_cmp_eq_u32_e64 s2, 3, v12
	v_cndmask_b32_e64 v6, 0, 1, vcc_lo
	v_cmp_lt_i32_e32 vcc_lo, 5, v11
	v_lshl_or_b32 v2, v2, 9, 0x7c00
	v_lshl_or_b32 v6, v6, 9, 0x7c00
	s_or_b32 vcc_lo, s0, vcc_lo
	v_add_co_ci_u32_e32 v9, vcc_lo, 0, v9, vcc_lo
	s_or_b32 vcc_lo, s2, s1
	v_add_co_ci_u32_e32 v4, vcc_lo, 0, v4, vcc_lo
	v_cmp_gt_i32_e32 vcc_lo, 31, v8
	v_cndmask_b32_e32 v9, 0x7c00, v9, vcc_lo
	v_cmp_gt_i32_e32 vcc_lo, 31, v10
	v_cndmask_b32_e32 v4, 0x7c00, v4, vcc_lo
	v_cmp_eq_u32_e32 vcc_lo, 0x40f, v8
	v_cndmask_b32_e32 v2, v9, v2, vcc_lo
	v_cmp_eq_u32_e32 vcc_lo, 0x40f, v10
	v_and_or_b32 v2, 0x8000, v5, v2
	v_cndmask_b32_e32 v4, v4, v6, vcc_lo
	v_add_co_u32 v0, vcc_lo, v0, s6
	v_add_co_ci_u32_e32 v1, vcc_lo, s7, v1, vcc_lo
	v_and_or_b32 v4, 0x8000, v7, v4
	v_and_b32_e32 v2, 0xffff, v2
	v_lshl_or_b32 v2, v4, 16, v2
	v_lshrrev_b32_e32 v4, 16, v3
	global_store_dword v[0:1], v2, off
	global_load_dword v2, v[21:22], off offset:356
	s_waitcnt vmcnt(0)
	v_mul_f16_sdwa v5, v4, v2 dst_sel:DWORD dst_unused:UNUSED_PAD src0_sel:DWORD src1_sel:WORD_1
	v_mul_f16_sdwa v6, v3, v2 dst_sel:DWORD dst_unused:UNUSED_PAD src0_sel:DWORD src1_sel:WORD_1
	v_fmac_f16_e32 v5, v3, v2
	v_fma_f16 v2, v2, v4, -v6
	v_cvt_f32_f16_e32 v3, v5
	v_cvt_f32_f16_e32 v4, v2
	v_cvt_f64_f32_e32 v[2:3], v3
	v_cvt_f64_f32_e32 v[4:5], v4
	v_mul_f64 v[2:3], v[2:3], s[4:5]
	v_mul_f64 v[4:5], v[4:5], s[4:5]
	v_and_or_b32 v2, 0x1ff, v3, v2
	v_and_or_b32 v4, 0x1ff, v5, v4
	v_lshrrev_b32_e32 v6, 8, v3
	v_bfe_u32 v7, v3, 20, 11
	v_lshrrev_b32_e32 v8, 8, v5
	v_cmp_ne_u32_e32 vcc_lo, 0, v2
	v_bfe_u32 v9, v5, 20, 11
	v_lshrrev_b32_e32 v3, 16, v3
	v_sub_nc_u32_e32 v10, 0x3f1, v7
	v_add_nc_u32_e32 v7, 0xfffffc10, v7
	v_cndmask_b32_e64 v2, 0, 1, vcc_lo
	v_cmp_ne_u32_e32 vcc_lo, 0, v4
	v_lshrrev_b32_e32 v5, 16, v5
	v_and_or_b32 v2, 0xffe, v6, v2
	v_cndmask_b32_e64 v4, 0, 1, vcc_lo
	v_sub_nc_u32_e32 v6, 0x3f1, v9
	v_add_nc_u32_e32 v9, 0xfffffc10, v9
	v_and_or_b32 v4, 0xffe, v8, v4
	v_med3_i32 v8, v10, 0, 13
	v_or_b32_e32 v10, 0x1000, v2
	v_med3_i32 v6, v6, 0, 13
	v_or_b32_e32 v11, 0x1000, v4
	v_lshrrev_b32_e32 v12, v8, v10
	v_lshrrev_b32_e32 v13, v6, v11
	v_lshlrev_b32_e32 v8, v8, v12
	v_lshlrev_b32_e32 v6, v6, v13
	v_cmp_ne_u32_e32 vcc_lo, v8, v10
	v_lshl_or_b32 v10, v7, 12, v2
	v_cndmask_b32_e64 v8, 0, 1, vcc_lo
	v_cmp_ne_u32_e32 vcc_lo, v6, v11
	v_lshl_or_b32 v11, v9, 12, v4
	v_or_b32_e32 v8, v12, v8
	v_cndmask_b32_e64 v6, 0, 1, vcc_lo
	v_cmp_gt_i32_e32 vcc_lo, 1, v7
	v_or_b32_e32 v6, v13, v6
	v_cndmask_b32_e32 v8, v10, v8, vcc_lo
	v_cmp_gt_i32_e32 vcc_lo, 1, v9
	v_and_b32_e32 v10, 7, v8
	v_cndmask_b32_e32 v6, v11, v6, vcc_lo
	v_cmp_ne_u32_e32 vcc_lo, 0, v2
	v_lshrrev_b32_e32 v8, 2, v8
	v_cmp_eq_u32_e64 s0, 3, v10
	v_and_b32_e32 v11, 7, v6
	v_cndmask_b32_e64 v2, 0, 1, vcc_lo
	v_cmp_ne_u32_e32 vcc_lo, 0, v4
	v_lshrrev_b32_e32 v6, 2, v6
	v_cmp_lt_i32_e64 s1, 5, v11
	v_cmp_eq_u32_e64 s2, 3, v11
	v_cndmask_b32_e64 v4, 0, 1, vcc_lo
	v_cmp_lt_i32_e32 vcc_lo, 5, v10
	v_lshl_or_b32 v2, v2, 9, 0x7c00
	v_lshl_or_b32 v4, v4, 9, 0x7c00
	s_or_b32 vcc_lo, s0, vcc_lo
	v_add_co_ci_u32_e32 v8, vcc_lo, 0, v8, vcc_lo
	s_or_b32 vcc_lo, s2, s1
	v_add_co_ci_u32_e32 v6, vcc_lo, 0, v6, vcc_lo
	v_cmp_gt_i32_e32 vcc_lo, 31, v7
	v_cndmask_b32_e32 v8, 0x7c00, v8, vcc_lo
	v_cmp_gt_i32_e32 vcc_lo, 31, v9
	v_cndmask_b32_e32 v6, 0x7c00, v6, vcc_lo
	v_cmp_eq_u32_e32 vcc_lo, 0x40f, v7
	v_cndmask_b32_e32 v2, v8, v2, vcc_lo
	v_cmp_eq_u32_e32 vcc_lo, 0x40f, v9
	v_and_or_b32 v2, 0x8000, v3, v2
	v_cndmask_b32_e32 v4, v6, v4, vcc_lo
	v_add_co_u32 v0, vcc_lo, v0, s6
	v_add_co_ci_u32_e32 v1, vcc_lo, s7, v1, vcc_lo
	v_and_or_b32 v3, 0x8000, v5, v4
	v_and_b32_e32 v2, 0xffff, v2
	v_lshl_or_b32 v2, v3, 16, v2
	global_store_dword v[0:1], v2, off
	global_load_dword v4, v[21:22], off offset:452
	ds_read2_b32 v[2:3], v70 offset0:113 offset1:137
	s_waitcnt lgkmcnt(0)
	v_lshrrev_b32_e32 v5, 16, v2
	s_waitcnt vmcnt(0)
	v_mul_f16_sdwa v6, v5, v4 dst_sel:DWORD dst_unused:UNUSED_PAD src0_sel:DWORD src1_sel:WORD_1
	v_mul_f16_sdwa v7, v2, v4 dst_sel:DWORD dst_unused:UNUSED_PAD src0_sel:DWORD src1_sel:WORD_1
	v_fmac_f16_e32 v6, v2, v4
	v_fma_f16 v2, v4, v5, -v7
	v_cvt_f32_f16_e32 v4, v6
	v_cvt_f32_f16_e32 v2, v2
	v_cvt_f64_f32_e32 v[4:5], v4
	v_cvt_f64_f32_e32 v[6:7], v2
	v_mul_f64 v[4:5], v[4:5], s[4:5]
	v_mul_f64 v[6:7], v[6:7], s[4:5]
	v_and_or_b32 v2, 0x1ff, v5, v4
	v_and_or_b32 v6, 0x1ff, v7, v6
	v_lshrrev_b32_e32 v4, 8, v5
	v_bfe_u32 v8, v5, 20, 11
	v_lshrrev_b32_e32 v9, 8, v7
	v_cmp_ne_u32_e32 vcc_lo, 0, v2
	v_bfe_u32 v10, v7, 20, 11
	v_lshrrev_b32_e32 v5, 16, v5
	v_sub_nc_u32_e32 v11, 0x3f1, v8
	v_add_nc_u32_e32 v8, 0xfffffc10, v8
	v_cndmask_b32_e64 v2, 0, 1, vcc_lo
	v_cmp_ne_u32_e32 vcc_lo, 0, v6
	v_lshrrev_b32_e32 v7, 16, v7
	v_and_or_b32 v2, 0xffe, v4, v2
	v_cndmask_b32_e64 v6, 0, 1, vcc_lo
	v_sub_nc_u32_e32 v4, 0x3f1, v10
	v_add_nc_u32_e32 v10, 0xfffffc10, v10
	v_and_or_b32 v6, 0xffe, v9, v6
	v_med3_i32 v9, v11, 0, 13
	v_or_b32_e32 v11, 0x1000, v2
	v_med3_i32 v4, v4, 0, 13
	v_or_b32_e32 v12, 0x1000, v6
	v_lshrrev_b32_e32 v13, v9, v11
	v_lshrrev_b32_e32 v14, v4, v12
	v_lshlrev_b32_e32 v9, v9, v13
	v_lshlrev_b32_e32 v4, v4, v14
	v_cmp_ne_u32_e32 vcc_lo, v9, v11
	v_lshl_or_b32 v11, v8, 12, v2
	v_cndmask_b32_e64 v9, 0, 1, vcc_lo
	v_cmp_ne_u32_e32 vcc_lo, v4, v12
	v_lshl_or_b32 v12, v10, 12, v6
	v_or_b32_e32 v9, v13, v9
	v_cndmask_b32_e64 v4, 0, 1, vcc_lo
	v_cmp_gt_i32_e32 vcc_lo, 1, v8
	v_or_b32_e32 v4, v14, v4
	v_cndmask_b32_e32 v9, v11, v9, vcc_lo
	v_cmp_gt_i32_e32 vcc_lo, 1, v10
	v_and_b32_e32 v11, 7, v9
	v_cndmask_b32_e32 v4, v12, v4, vcc_lo
	v_cmp_ne_u32_e32 vcc_lo, 0, v2
	v_lshrrev_b32_e32 v9, 2, v9
	v_cmp_eq_u32_e64 s0, 3, v11
	v_and_b32_e32 v12, 7, v4
	v_cndmask_b32_e64 v2, 0, 1, vcc_lo
	v_cmp_ne_u32_e32 vcc_lo, 0, v6
	v_lshrrev_b32_e32 v4, 2, v4
	v_cmp_lt_i32_e64 s1, 5, v12
	v_cmp_eq_u32_e64 s2, 3, v12
	v_cndmask_b32_e64 v6, 0, 1, vcc_lo
	v_cmp_lt_i32_e32 vcc_lo, 5, v11
	v_lshl_or_b32 v2, v2, 9, 0x7c00
	v_lshl_or_b32 v6, v6, 9, 0x7c00
	s_or_b32 vcc_lo, s0, vcc_lo
	v_add_co_ci_u32_e32 v9, vcc_lo, 0, v9, vcc_lo
	s_or_b32 vcc_lo, s2, s1
	v_add_co_ci_u32_e32 v4, vcc_lo, 0, v4, vcc_lo
	v_cmp_gt_i32_e32 vcc_lo, 31, v8
	v_cndmask_b32_e32 v9, 0x7c00, v9, vcc_lo
	v_cmp_gt_i32_e32 vcc_lo, 31, v10
	v_cndmask_b32_e32 v4, 0x7c00, v4, vcc_lo
	v_cmp_eq_u32_e32 vcc_lo, 0x40f, v8
	v_cndmask_b32_e32 v2, v9, v2, vcc_lo
	v_cmp_eq_u32_e32 vcc_lo, 0x40f, v10
	v_and_or_b32 v2, 0x8000, v5, v2
	v_cndmask_b32_e32 v4, v4, v6, vcc_lo
	v_add_co_u32 v0, vcc_lo, v0, s6
	v_add_co_ci_u32_e32 v1, vcc_lo, s7, v1, vcc_lo
	v_and_or_b32 v4, 0x8000, v7, v4
	v_and_b32_e32 v2, 0xffff, v2
	v_lshl_or_b32 v2, v4, 16, v2
	v_lshrrev_b32_e32 v4, 16, v3
	global_store_dword v[0:1], v2, off
	global_load_dword v2, v[21:22], off offset:548
	s_waitcnt vmcnt(0)
	v_mul_f16_sdwa v5, v4, v2 dst_sel:DWORD dst_unused:UNUSED_PAD src0_sel:DWORD src1_sel:WORD_1
	v_mul_f16_sdwa v6, v3, v2 dst_sel:DWORD dst_unused:UNUSED_PAD src0_sel:DWORD src1_sel:WORD_1
	v_fmac_f16_e32 v5, v3, v2
	v_fma_f16 v2, v2, v4, -v6
	v_cvt_f32_f16_e32 v3, v5
	v_cvt_f32_f16_e32 v4, v2
	v_cvt_f64_f32_e32 v[2:3], v3
	v_cvt_f64_f32_e32 v[4:5], v4
	v_mul_f64 v[2:3], v[2:3], s[4:5]
	v_mul_f64 v[4:5], v[4:5], s[4:5]
	v_and_or_b32 v2, 0x1ff, v3, v2
	v_and_or_b32 v4, 0x1ff, v5, v4
	v_lshrrev_b32_e32 v6, 8, v3
	v_bfe_u32 v7, v3, 20, 11
	v_lshrrev_b32_e32 v8, 8, v5
	v_cmp_ne_u32_e32 vcc_lo, 0, v2
	v_bfe_u32 v9, v5, 20, 11
	v_lshrrev_b32_e32 v3, 16, v3
	v_sub_nc_u32_e32 v10, 0x3f1, v7
	v_add_nc_u32_e32 v7, 0xfffffc10, v7
	v_cndmask_b32_e64 v2, 0, 1, vcc_lo
	v_cmp_ne_u32_e32 vcc_lo, 0, v4
	v_lshrrev_b32_e32 v5, 16, v5
	v_and_or_b32 v2, 0xffe, v6, v2
	v_cndmask_b32_e64 v4, 0, 1, vcc_lo
	v_sub_nc_u32_e32 v6, 0x3f1, v9
	v_add_nc_u32_e32 v9, 0xfffffc10, v9
	v_and_or_b32 v4, 0xffe, v8, v4
	v_med3_i32 v8, v10, 0, 13
	v_or_b32_e32 v10, 0x1000, v2
	v_med3_i32 v6, v6, 0, 13
	v_or_b32_e32 v11, 0x1000, v4
	v_lshrrev_b32_e32 v12, v8, v10
	v_lshrrev_b32_e32 v13, v6, v11
	v_lshlrev_b32_e32 v8, v8, v12
	v_lshlrev_b32_e32 v6, v6, v13
	v_cmp_ne_u32_e32 vcc_lo, v8, v10
	v_lshl_or_b32 v10, v7, 12, v2
	v_cndmask_b32_e64 v8, 0, 1, vcc_lo
	v_cmp_ne_u32_e32 vcc_lo, v6, v11
	v_lshl_or_b32 v11, v9, 12, v4
	v_or_b32_e32 v8, v12, v8
	v_cndmask_b32_e64 v6, 0, 1, vcc_lo
	v_cmp_gt_i32_e32 vcc_lo, 1, v7
	v_or_b32_e32 v6, v13, v6
	v_cndmask_b32_e32 v8, v10, v8, vcc_lo
	v_cmp_gt_i32_e32 vcc_lo, 1, v9
	v_and_b32_e32 v10, 7, v8
	v_cndmask_b32_e32 v6, v11, v6, vcc_lo
	v_cmp_ne_u32_e32 vcc_lo, 0, v2
	v_lshrrev_b32_e32 v8, 2, v8
	v_cmp_eq_u32_e64 s0, 3, v10
	v_and_b32_e32 v11, 7, v6
	v_cndmask_b32_e64 v2, 0, 1, vcc_lo
	v_cmp_ne_u32_e32 vcc_lo, 0, v4
	v_lshrrev_b32_e32 v6, 2, v6
	v_cmp_lt_i32_e64 s1, 5, v11
	v_cmp_eq_u32_e64 s2, 3, v11
	v_cndmask_b32_e64 v4, 0, 1, vcc_lo
	v_cmp_lt_i32_e32 vcc_lo, 5, v10
	v_lshl_or_b32 v2, v2, 9, 0x7c00
	v_lshl_or_b32 v4, v4, 9, 0x7c00
	s_or_b32 vcc_lo, s0, vcc_lo
	v_add_co_ci_u32_e32 v8, vcc_lo, 0, v8, vcc_lo
	s_or_b32 vcc_lo, s2, s1
	v_add_co_ci_u32_e32 v6, vcc_lo, 0, v6, vcc_lo
	v_cmp_gt_i32_e32 vcc_lo, 31, v7
	v_cndmask_b32_e32 v8, 0x7c00, v8, vcc_lo
	v_cmp_gt_i32_e32 vcc_lo, 31, v9
	v_cndmask_b32_e32 v6, 0x7c00, v6, vcc_lo
	v_cmp_eq_u32_e32 vcc_lo, 0x40f, v7
	v_cndmask_b32_e32 v2, v8, v2, vcc_lo
	v_cmp_eq_u32_e32 vcc_lo, 0x40f, v9
	v_and_or_b32 v2, 0x8000, v3, v2
	v_cndmask_b32_e32 v4, v6, v4, vcc_lo
	v_add_co_u32 v0, vcc_lo, v0, s6
	v_add_co_ci_u32_e32 v1, vcc_lo, s7, v1, vcc_lo
	v_and_or_b32 v3, 0x8000, v5, v4
	v_and_b32_e32 v2, 0xffff, v2
	v_lshl_or_b32 v2, v3, 16, v2
	global_store_dword v[0:1], v2, off
	global_load_dword v4, v[21:22], off offset:644
	ds_read2_b32 v[2:3], v70 offset0:161 offset1:185
	s_waitcnt lgkmcnt(0)
	v_lshrrev_b32_e32 v5, 16, v2
	s_waitcnt vmcnt(0)
	v_mul_f16_sdwa v6, v5, v4 dst_sel:DWORD dst_unused:UNUSED_PAD src0_sel:DWORD src1_sel:WORD_1
	v_mul_f16_sdwa v7, v2, v4 dst_sel:DWORD dst_unused:UNUSED_PAD src0_sel:DWORD src1_sel:WORD_1
	v_fmac_f16_e32 v6, v2, v4
	v_fma_f16 v2, v4, v5, -v7
	v_cvt_f32_f16_e32 v4, v6
	v_cvt_f32_f16_e32 v2, v2
	v_cvt_f64_f32_e32 v[4:5], v4
	v_cvt_f64_f32_e32 v[6:7], v2
	v_mul_f64 v[4:5], v[4:5], s[4:5]
	v_mul_f64 v[6:7], v[6:7], s[4:5]
	v_and_or_b32 v2, 0x1ff, v5, v4
	v_and_or_b32 v6, 0x1ff, v7, v6
	v_lshrrev_b32_e32 v4, 8, v5
	v_bfe_u32 v8, v5, 20, 11
	v_lshrrev_b32_e32 v9, 8, v7
	v_cmp_ne_u32_e32 vcc_lo, 0, v2
	v_bfe_u32 v10, v7, 20, 11
	v_lshrrev_b32_e32 v5, 16, v5
	v_sub_nc_u32_e32 v11, 0x3f1, v8
	v_add_nc_u32_e32 v8, 0xfffffc10, v8
	v_cndmask_b32_e64 v2, 0, 1, vcc_lo
	v_cmp_ne_u32_e32 vcc_lo, 0, v6
	v_lshrrev_b32_e32 v7, 16, v7
	v_and_or_b32 v2, 0xffe, v4, v2
	v_cndmask_b32_e64 v6, 0, 1, vcc_lo
	v_sub_nc_u32_e32 v4, 0x3f1, v10
	v_add_nc_u32_e32 v10, 0xfffffc10, v10
	v_and_or_b32 v6, 0xffe, v9, v6
	v_med3_i32 v9, v11, 0, 13
	v_or_b32_e32 v11, 0x1000, v2
	v_med3_i32 v4, v4, 0, 13
	v_or_b32_e32 v12, 0x1000, v6
	v_lshrrev_b32_e32 v13, v9, v11
	v_lshrrev_b32_e32 v14, v4, v12
	v_lshlrev_b32_e32 v9, v9, v13
	v_lshlrev_b32_e32 v4, v4, v14
	v_cmp_ne_u32_e32 vcc_lo, v9, v11
	v_lshl_or_b32 v11, v8, 12, v2
	v_cndmask_b32_e64 v9, 0, 1, vcc_lo
	v_cmp_ne_u32_e32 vcc_lo, v4, v12
	v_lshl_or_b32 v12, v10, 12, v6
	v_or_b32_e32 v9, v13, v9
	v_cndmask_b32_e64 v4, 0, 1, vcc_lo
	v_cmp_gt_i32_e32 vcc_lo, 1, v8
	v_or_b32_e32 v4, v14, v4
	v_cndmask_b32_e32 v9, v11, v9, vcc_lo
	v_cmp_gt_i32_e32 vcc_lo, 1, v10
	v_and_b32_e32 v11, 7, v9
	v_cndmask_b32_e32 v4, v12, v4, vcc_lo
	v_cmp_ne_u32_e32 vcc_lo, 0, v2
	v_lshrrev_b32_e32 v9, 2, v9
	v_cmp_eq_u32_e64 s0, 3, v11
	v_and_b32_e32 v12, 7, v4
	v_cndmask_b32_e64 v2, 0, 1, vcc_lo
	v_cmp_ne_u32_e32 vcc_lo, 0, v6
	v_lshrrev_b32_e32 v4, 2, v4
	v_cmp_lt_i32_e64 s1, 5, v12
	v_cmp_eq_u32_e64 s2, 3, v12
	v_cndmask_b32_e64 v6, 0, 1, vcc_lo
	v_cmp_lt_i32_e32 vcc_lo, 5, v11
	v_lshl_or_b32 v2, v2, 9, 0x7c00
	v_lshl_or_b32 v6, v6, 9, 0x7c00
	s_or_b32 vcc_lo, s0, vcc_lo
	v_add_co_ci_u32_e32 v9, vcc_lo, 0, v9, vcc_lo
	s_or_b32 vcc_lo, s2, s1
	v_add_co_ci_u32_e32 v4, vcc_lo, 0, v4, vcc_lo
	v_cmp_gt_i32_e32 vcc_lo, 31, v8
	v_cndmask_b32_e32 v9, 0x7c00, v9, vcc_lo
	v_cmp_gt_i32_e32 vcc_lo, 31, v10
	v_cndmask_b32_e32 v4, 0x7c00, v4, vcc_lo
	v_cmp_eq_u32_e32 vcc_lo, 0x40f, v8
	v_cndmask_b32_e32 v2, v9, v2, vcc_lo
	v_cmp_eq_u32_e32 vcc_lo, 0x40f, v10
	v_and_or_b32 v2, 0x8000, v5, v2
	v_cndmask_b32_e32 v4, v4, v6, vcc_lo
	v_add_co_u32 v0, vcc_lo, v0, s6
	v_add_co_ci_u32_e32 v1, vcc_lo, s7, v1, vcc_lo
	v_and_or_b32 v4, 0x8000, v7, v4
	v_and_b32_e32 v2, 0xffff, v2
	v_lshl_or_b32 v2, v4, 16, v2
	v_lshrrev_b32_e32 v4, 16, v3
	global_store_dword v[0:1], v2, off
	global_load_dword v2, v[21:22], off offset:740
	s_waitcnt vmcnt(0)
	v_mul_f16_sdwa v5, v4, v2 dst_sel:DWORD dst_unused:UNUSED_PAD src0_sel:DWORD src1_sel:WORD_1
	v_mul_f16_sdwa v6, v3, v2 dst_sel:DWORD dst_unused:UNUSED_PAD src0_sel:DWORD src1_sel:WORD_1
	v_fmac_f16_e32 v5, v3, v2
	v_fma_f16 v2, v2, v4, -v6
	v_cvt_f32_f16_e32 v3, v5
	v_cvt_f32_f16_e32 v4, v2
	v_cvt_f64_f32_e32 v[2:3], v3
	v_cvt_f64_f32_e32 v[4:5], v4
	v_mul_f64 v[2:3], v[2:3], s[4:5]
	v_mul_f64 v[4:5], v[4:5], s[4:5]
	v_and_or_b32 v2, 0x1ff, v3, v2
	v_and_or_b32 v4, 0x1ff, v5, v4
	v_lshrrev_b32_e32 v6, 8, v3
	v_bfe_u32 v7, v3, 20, 11
	v_lshrrev_b32_e32 v8, 8, v5
	v_cmp_ne_u32_e32 vcc_lo, 0, v2
	v_bfe_u32 v9, v5, 20, 11
	v_lshrrev_b32_e32 v3, 16, v3
	v_sub_nc_u32_e32 v10, 0x3f1, v7
	v_add_nc_u32_e32 v7, 0xfffffc10, v7
	v_cndmask_b32_e64 v2, 0, 1, vcc_lo
	v_cmp_ne_u32_e32 vcc_lo, 0, v4
	v_lshrrev_b32_e32 v5, 16, v5
	v_and_or_b32 v2, 0xffe, v6, v2
	v_cndmask_b32_e64 v4, 0, 1, vcc_lo
	v_sub_nc_u32_e32 v6, 0x3f1, v9
	v_add_nc_u32_e32 v9, 0xfffffc10, v9
	v_and_or_b32 v4, 0xffe, v8, v4
	v_med3_i32 v8, v10, 0, 13
	v_or_b32_e32 v10, 0x1000, v2
	v_med3_i32 v6, v6, 0, 13
	v_or_b32_e32 v11, 0x1000, v4
	v_lshrrev_b32_e32 v12, v8, v10
	v_lshrrev_b32_e32 v13, v6, v11
	v_lshlrev_b32_e32 v8, v8, v12
	v_lshlrev_b32_e32 v6, v6, v13
	v_cmp_ne_u32_e32 vcc_lo, v8, v10
	v_lshl_or_b32 v10, v7, 12, v2
	v_cndmask_b32_e64 v8, 0, 1, vcc_lo
	v_cmp_ne_u32_e32 vcc_lo, v6, v11
	v_lshl_or_b32 v11, v9, 12, v4
	v_or_b32_e32 v8, v12, v8
	v_cndmask_b32_e64 v6, 0, 1, vcc_lo
	v_cmp_gt_i32_e32 vcc_lo, 1, v7
	v_or_b32_e32 v6, v13, v6
	v_cndmask_b32_e32 v8, v10, v8, vcc_lo
	v_cmp_gt_i32_e32 vcc_lo, 1, v9
	v_and_b32_e32 v10, 7, v8
	v_cndmask_b32_e32 v6, v11, v6, vcc_lo
	v_cmp_ne_u32_e32 vcc_lo, 0, v2
	v_lshrrev_b32_e32 v8, 2, v8
	v_cmp_eq_u32_e64 s0, 3, v10
	v_and_b32_e32 v11, 7, v6
	v_cndmask_b32_e64 v2, 0, 1, vcc_lo
	v_cmp_ne_u32_e32 vcc_lo, 0, v4
	v_lshrrev_b32_e32 v6, 2, v6
	v_cmp_lt_i32_e64 s1, 5, v11
	v_cmp_eq_u32_e64 s2, 3, v11
	v_cndmask_b32_e64 v4, 0, 1, vcc_lo
	v_cmp_lt_i32_e32 vcc_lo, 5, v10
	v_lshl_or_b32 v2, v2, 9, 0x7c00
	v_lshl_or_b32 v4, v4, 9, 0x7c00
	s_or_b32 vcc_lo, s0, vcc_lo
	v_add_co_ci_u32_e32 v8, vcc_lo, 0, v8, vcc_lo
	s_or_b32 vcc_lo, s2, s1
	v_add_co_ci_u32_e32 v6, vcc_lo, 0, v6, vcc_lo
	v_cmp_gt_i32_e32 vcc_lo, 31, v7
	v_cndmask_b32_e32 v8, 0x7c00, v8, vcc_lo
	v_cmp_gt_i32_e32 vcc_lo, 31, v9
	v_cndmask_b32_e32 v6, 0x7c00, v6, vcc_lo
	v_cmp_eq_u32_e32 vcc_lo, 0x40f, v7
	v_cndmask_b32_e32 v2, v8, v2, vcc_lo
	v_cmp_eq_u32_e32 vcc_lo, 0x40f, v9
	v_and_or_b32 v2, 0x8000, v3, v2
	v_cndmask_b32_e32 v4, v6, v4, vcc_lo
	v_add_co_u32 v0, vcc_lo, v0, s6
	v_add_co_ci_u32_e32 v1, vcc_lo, s7, v1, vcc_lo
	v_and_or_b32 v3, 0x8000, v5, v4
	v_and_b32_e32 v2, 0xffff, v2
	v_lshl_or_b32 v2, v3, 16, v2
	global_store_dword v[0:1], v2, off
	global_load_dword v4, v[21:22], off offset:836
	ds_read2_b32 v[2:3], v70 offset0:209 offset1:233
	s_waitcnt lgkmcnt(0)
	v_lshrrev_b32_e32 v5, 16, v2
	s_waitcnt vmcnt(0)
	v_mul_f16_sdwa v6, v5, v4 dst_sel:DWORD dst_unused:UNUSED_PAD src0_sel:DWORD src1_sel:WORD_1
	v_mul_f16_sdwa v7, v2, v4 dst_sel:DWORD dst_unused:UNUSED_PAD src0_sel:DWORD src1_sel:WORD_1
	v_fmac_f16_e32 v6, v2, v4
	v_fma_f16 v2, v4, v5, -v7
	v_cvt_f32_f16_e32 v4, v6
	v_cvt_f32_f16_e32 v2, v2
	v_cvt_f64_f32_e32 v[4:5], v4
	v_cvt_f64_f32_e32 v[6:7], v2
	v_mul_f64 v[4:5], v[4:5], s[4:5]
	v_mul_f64 v[6:7], v[6:7], s[4:5]
	v_and_or_b32 v2, 0x1ff, v5, v4
	v_and_or_b32 v6, 0x1ff, v7, v6
	v_lshrrev_b32_e32 v4, 8, v5
	v_bfe_u32 v8, v5, 20, 11
	v_lshrrev_b32_e32 v9, 8, v7
	v_cmp_ne_u32_e32 vcc_lo, 0, v2
	v_bfe_u32 v10, v7, 20, 11
	v_lshrrev_b32_e32 v5, 16, v5
	v_sub_nc_u32_e32 v11, 0x3f1, v8
	v_add_nc_u32_e32 v8, 0xfffffc10, v8
	v_cndmask_b32_e64 v2, 0, 1, vcc_lo
	v_cmp_ne_u32_e32 vcc_lo, 0, v6
	v_lshrrev_b32_e32 v7, 16, v7
	v_and_or_b32 v2, 0xffe, v4, v2
	v_cndmask_b32_e64 v6, 0, 1, vcc_lo
	v_sub_nc_u32_e32 v4, 0x3f1, v10
	v_add_nc_u32_e32 v10, 0xfffffc10, v10
	v_and_or_b32 v6, 0xffe, v9, v6
	v_med3_i32 v9, v11, 0, 13
	v_or_b32_e32 v11, 0x1000, v2
	v_med3_i32 v4, v4, 0, 13
	v_or_b32_e32 v12, 0x1000, v6
	v_lshrrev_b32_e32 v13, v9, v11
	v_lshrrev_b32_e32 v14, v4, v12
	v_lshlrev_b32_e32 v9, v9, v13
	v_lshlrev_b32_e32 v4, v4, v14
	v_cmp_ne_u32_e32 vcc_lo, v9, v11
	v_lshl_or_b32 v11, v8, 12, v2
	v_cndmask_b32_e64 v9, 0, 1, vcc_lo
	v_cmp_ne_u32_e32 vcc_lo, v4, v12
	v_lshl_or_b32 v12, v10, 12, v6
	v_or_b32_e32 v9, v13, v9
	v_cndmask_b32_e64 v4, 0, 1, vcc_lo
	v_cmp_gt_i32_e32 vcc_lo, 1, v8
	v_or_b32_e32 v4, v14, v4
	v_cndmask_b32_e32 v9, v11, v9, vcc_lo
	v_cmp_gt_i32_e32 vcc_lo, 1, v10
	v_and_b32_e32 v11, 7, v9
	v_cndmask_b32_e32 v4, v12, v4, vcc_lo
	v_cmp_ne_u32_e32 vcc_lo, 0, v2
	v_lshrrev_b32_e32 v9, 2, v9
	v_cmp_eq_u32_e64 s0, 3, v11
	v_and_b32_e32 v12, 7, v4
	v_cndmask_b32_e64 v2, 0, 1, vcc_lo
	v_cmp_ne_u32_e32 vcc_lo, 0, v6
	v_lshrrev_b32_e32 v4, 2, v4
	v_cmp_lt_i32_e64 s1, 5, v12
	v_cmp_eq_u32_e64 s2, 3, v12
	v_cndmask_b32_e64 v6, 0, 1, vcc_lo
	v_cmp_lt_i32_e32 vcc_lo, 5, v11
	v_lshl_or_b32 v2, v2, 9, 0x7c00
	v_lshl_or_b32 v6, v6, 9, 0x7c00
	s_or_b32 vcc_lo, s0, vcc_lo
	v_add_co_ci_u32_e32 v9, vcc_lo, 0, v9, vcc_lo
	s_or_b32 vcc_lo, s2, s1
	v_add_co_ci_u32_e32 v4, vcc_lo, 0, v4, vcc_lo
	v_cmp_gt_i32_e32 vcc_lo, 31, v8
	v_cndmask_b32_e32 v9, 0x7c00, v9, vcc_lo
	v_cmp_gt_i32_e32 vcc_lo, 31, v10
	v_cndmask_b32_e32 v4, 0x7c00, v4, vcc_lo
	v_cmp_eq_u32_e32 vcc_lo, 0x40f, v8
	v_cndmask_b32_e32 v2, v9, v2, vcc_lo
	v_cmp_eq_u32_e32 vcc_lo, 0x40f, v10
	v_and_or_b32 v2, 0x8000, v5, v2
	v_cndmask_b32_e32 v4, v4, v6, vcc_lo
	v_add_co_u32 v0, vcc_lo, v0, s6
	v_add_co_ci_u32_e32 v1, vcc_lo, s7, v1, vcc_lo
	v_and_or_b32 v4, 0x8000, v7, v4
	v_and_b32_e32 v2, 0xffff, v2
	v_lshl_or_b32 v2, v4, 16, v2
	v_lshrrev_b32_e32 v4, 16, v3
	global_store_dword v[0:1], v2, off
	global_load_dword v2, v[21:22], off offset:932
	s_waitcnt vmcnt(0)
	v_mul_f16_sdwa v5, v4, v2 dst_sel:DWORD dst_unused:UNUSED_PAD src0_sel:DWORD src1_sel:WORD_1
	v_mul_f16_sdwa v6, v3, v2 dst_sel:DWORD dst_unused:UNUSED_PAD src0_sel:DWORD src1_sel:WORD_1
	v_fmac_f16_e32 v5, v3, v2
	v_fma_f16 v2, v2, v4, -v6
	v_cvt_f32_f16_e32 v3, v5
	v_cvt_f32_f16_e32 v4, v2
	v_cvt_f64_f32_e32 v[2:3], v3
	v_cvt_f64_f32_e32 v[4:5], v4
	v_mul_f64 v[2:3], v[2:3], s[4:5]
	v_mul_f64 v[4:5], v[4:5], s[4:5]
	v_and_or_b32 v2, 0x1ff, v3, v2
	v_and_or_b32 v4, 0x1ff, v5, v4
	v_lshrrev_b32_e32 v6, 8, v3
	v_bfe_u32 v7, v3, 20, 11
	v_lshrrev_b32_e32 v8, 8, v5
	v_cmp_ne_u32_e32 vcc_lo, 0, v2
	v_bfe_u32 v9, v5, 20, 11
	v_lshrrev_b32_e32 v3, 16, v3
	v_sub_nc_u32_e32 v10, 0x3f1, v7
	v_add_nc_u32_e32 v7, 0xfffffc10, v7
	v_cndmask_b32_e64 v2, 0, 1, vcc_lo
	v_cmp_ne_u32_e32 vcc_lo, 0, v4
	v_lshrrev_b32_e32 v5, 16, v5
	v_and_or_b32 v2, 0xffe, v6, v2
	v_cndmask_b32_e64 v4, 0, 1, vcc_lo
	v_sub_nc_u32_e32 v6, 0x3f1, v9
	v_add_nc_u32_e32 v9, 0xfffffc10, v9
	v_and_or_b32 v4, 0xffe, v8, v4
	v_med3_i32 v8, v10, 0, 13
	v_or_b32_e32 v10, 0x1000, v2
	v_med3_i32 v6, v6, 0, 13
	v_or_b32_e32 v11, 0x1000, v4
	v_lshrrev_b32_e32 v12, v8, v10
	v_lshrrev_b32_e32 v13, v6, v11
	v_lshlrev_b32_e32 v8, v8, v12
	v_lshlrev_b32_e32 v6, v6, v13
	v_cmp_ne_u32_e32 vcc_lo, v8, v10
	v_lshl_or_b32 v10, v7, 12, v2
	v_cndmask_b32_e64 v8, 0, 1, vcc_lo
	v_cmp_ne_u32_e32 vcc_lo, v6, v11
	v_lshl_or_b32 v11, v9, 12, v4
	v_or_b32_e32 v8, v12, v8
	v_cndmask_b32_e64 v6, 0, 1, vcc_lo
	v_cmp_gt_i32_e32 vcc_lo, 1, v7
	v_or_b32_e32 v6, v13, v6
	v_cndmask_b32_e32 v8, v10, v8, vcc_lo
	v_cmp_gt_i32_e32 vcc_lo, 1, v9
	v_and_b32_e32 v10, 7, v8
	v_cndmask_b32_e32 v6, v11, v6, vcc_lo
	v_cmp_ne_u32_e32 vcc_lo, 0, v2
	v_lshrrev_b32_e32 v8, 2, v8
	v_cmp_eq_u32_e64 s0, 3, v10
	v_and_b32_e32 v11, 7, v6
	v_cndmask_b32_e64 v2, 0, 1, vcc_lo
	v_cmp_ne_u32_e32 vcc_lo, 0, v4
	v_lshrrev_b32_e32 v6, 2, v6
	v_cmp_lt_i32_e64 s1, 5, v11
	v_cmp_eq_u32_e64 s2, 3, v11
	v_cndmask_b32_e64 v4, 0, 1, vcc_lo
	v_cmp_lt_i32_e32 vcc_lo, 5, v10
	v_lshl_or_b32 v2, v2, 9, 0x7c00
	v_lshl_or_b32 v4, v4, 9, 0x7c00
	s_or_b32 vcc_lo, s0, vcc_lo
	v_add_co_ci_u32_e32 v8, vcc_lo, 0, v8, vcc_lo
	s_or_b32 vcc_lo, s2, s1
	v_add_co_ci_u32_e32 v6, vcc_lo, 0, v6, vcc_lo
	v_cmp_gt_i32_e32 vcc_lo, 31, v7
	v_cndmask_b32_e32 v8, 0x7c00, v8, vcc_lo
	v_cmp_gt_i32_e32 vcc_lo, 31, v9
	v_cndmask_b32_e32 v6, 0x7c00, v6, vcc_lo
	v_cmp_eq_u32_e32 vcc_lo, 0x40f, v7
	v_cndmask_b32_e32 v2, v8, v2, vcc_lo
	v_cmp_eq_u32_e32 vcc_lo, 0x40f, v9
	v_and_or_b32 v2, 0x8000, v3, v2
	v_cndmask_b32_e32 v4, v6, v4, vcc_lo
	v_add_co_u32 v0, vcc_lo, v0, s6
	v_add_co_ci_u32_e32 v1, vcc_lo, s7, v1, vcc_lo
	v_and_or_b32 v3, 0x8000, v5, v4
	v_and_b32_e32 v2, 0xffff, v2
	v_lshl_or_b32 v2, v3, 16, v2
	global_store_dword v[0:1], v2, off
	global_load_dword v4, v[21:22], off offset:1028
	ds_read2_b32 v[2:3], v24 offset0:1 offset1:25
	s_waitcnt lgkmcnt(0)
	v_lshrrev_b32_e32 v5, 16, v2
	s_waitcnt vmcnt(0)
	v_mul_f16_sdwa v6, v5, v4 dst_sel:DWORD dst_unused:UNUSED_PAD src0_sel:DWORD src1_sel:WORD_1
	v_mul_f16_sdwa v7, v2, v4 dst_sel:DWORD dst_unused:UNUSED_PAD src0_sel:DWORD src1_sel:WORD_1
	v_fmac_f16_e32 v6, v2, v4
	v_fma_f16 v2, v4, v5, -v7
	v_cvt_f32_f16_e32 v4, v6
	v_cvt_f32_f16_e32 v2, v2
	v_cvt_f64_f32_e32 v[4:5], v4
	v_cvt_f64_f32_e32 v[6:7], v2
	v_mul_f64 v[4:5], v[4:5], s[4:5]
	v_mul_f64 v[6:7], v[6:7], s[4:5]
	v_and_or_b32 v2, 0x1ff, v5, v4
	v_and_or_b32 v6, 0x1ff, v7, v6
	v_lshrrev_b32_e32 v4, 8, v5
	v_bfe_u32 v8, v5, 20, 11
	v_lshrrev_b32_e32 v9, 8, v7
	v_cmp_ne_u32_e32 vcc_lo, 0, v2
	v_bfe_u32 v10, v7, 20, 11
	v_lshrrev_b32_e32 v5, 16, v5
	v_sub_nc_u32_e32 v11, 0x3f1, v8
	v_add_nc_u32_e32 v8, 0xfffffc10, v8
	v_cndmask_b32_e64 v2, 0, 1, vcc_lo
	v_cmp_ne_u32_e32 vcc_lo, 0, v6
	v_lshrrev_b32_e32 v7, 16, v7
	v_and_or_b32 v2, 0xffe, v4, v2
	v_cndmask_b32_e64 v6, 0, 1, vcc_lo
	v_sub_nc_u32_e32 v4, 0x3f1, v10
	v_add_nc_u32_e32 v10, 0xfffffc10, v10
	v_and_or_b32 v6, 0xffe, v9, v6
	v_med3_i32 v9, v11, 0, 13
	v_or_b32_e32 v11, 0x1000, v2
	v_med3_i32 v4, v4, 0, 13
	v_or_b32_e32 v12, 0x1000, v6
	v_lshrrev_b32_e32 v13, v9, v11
	v_lshrrev_b32_e32 v14, v4, v12
	v_lshlrev_b32_e32 v9, v9, v13
	v_lshlrev_b32_e32 v4, v4, v14
	v_cmp_ne_u32_e32 vcc_lo, v9, v11
	v_lshl_or_b32 v11, v8, 12, v2
	v_cndmask_b32_e64 v9, 0, 1, vcc_lo
	v_cmp_ne_u32_e32 vcc_lo, v4, v12
	v_lshl_or_b32 v12, v10, 12, v6
	v_or_b32_e32 v9, v13, v9
	v_cndmask_b32_e64 v4, 0, 1, vcc_lo
	v_cmp_gt_i32_e32 vcc_lo, 1, v8
	v_or_b32_e32 v4, v14, v4
	v_cndmask_b32_e32 v9, v11, v9, vcc_lo
	v_cmp_gt_i32_e32 vcc_lo, 1, v10
	v_and_b32_e32 v11, 7, v9
	v_cndmask_b32_e32 v4, v12, v4, vcc_lo
	v_cmp_ne_u32_e32 vcc_lo, 0, v2
	v_lshrrev_b32_e32 v9, 2, v9
	v_cmp_eq_u32_e64 s0, 3, v11
	v_and_b32_e32 v12, 7, v4
	v_cndmask_b32_e64 v2, 0, 1, vcc_lo
	v_cmp_ne_u32_e32 vcc_lo, 0, v6
	v_lshrrev_b32_e32 v4, 2, v4
	v_cmp_lt_i32_e64 s1, 5, v12
	v_cmp_eq_u32_e64 s2, 3, v12
	v_cndmask_b32_e64 v6, 0, 1, vcc_lo
	v_cmp_lt_i32_e32 vcc_lo, 5, v11
	v_lshl_or_b32 v2, v2, 9, 0x7c00
	v_lshl_or_b32 v6, v6, 9, 0x7c00
	s_or_b32 vcc_lo, s0, vcc_lo
	v_add_co_ci_u32_e32 v9, vcc_lo, 0, v9, vcc_lo
	s_or_b32 vcc_lo, s2, s1
	v_add_co_ci_u32_e32 v4, vcc_lo, 0, v4, vcc_lo
	v_cmp_gt_i32_e32 vcc_lo, 31, v8
	v_cndmask_b32_e32 v9, 0x7c00, v9, vcc_lo
	v_cmp_gt_i32_e32 vcc_lo, 31, v10
	v_cndmask_b32_e32 v4, 0x7c00, v4, vcc_lo
	v_cmp_eq_u32_e32 vcc_lo, 0x40f, v8
	v_cndmask_b32_e32 v2, v9, v2, vcc_lo
	v_cmp_eq_u32_e32 vcc_lo, 0x40f, v10
	v_and_or_b32 v2, 0x8000, v5, v2
	v_cndmask_b32_e32 v4, v4, v6, vcc_lo
	v_add_co_u32 v0, vcc_lo, v0, s6
	v_add_co_ci_u32_e32 v1, vcc_lo, s7, v1, vcc_lo
	v_and_or_b32 v4, 0x8000, v7, v4
	v_and_b32_e32 v2, 0xffff, v2
	v_lshl_or_b32 v2, v4, 16, v2
	v_lshrrev_b32_e32 v4, 16, v3
	global_store_dword v[0:1], v2, off
	global_load_dword v2, v[21:22], off offset:1124
	s_waitcnt vmcnt(0)
	v_mul_f16_sdwa v5, v4, v2 dst_sel:DWORD dst_unused:UNUSED_PAD src0_sel:DWORD src1_sel:WORD_1
	v_mul_f16_sdwa v6, v3, v2 dst_sel:DWORD dst_unused:UNUSED_PAD src0_sel:DWORD src1_sel:WORD_1
	v_fmac_f16_e32 v5, v3, v2
	v_fma_f16 v2, v2, v4, -v6
	v_cvt_f32_f16_e32 v3, v5
	v_cvt_f32_f16_e32 v4, v2
	v_cvt_f64_f32_e32 v[2:3], v3
	v_cvt_f64_f32_e32 v[4:5], v4
	v_mul_f64 v[2:3], v[2:3], s[4:5]
	v_mul_f64 v[4:5], v[4:5], s[4:5]
	v_and_or_b32 v2, 0x1ff, v3, v2
	v_and_or_b32 v4, 0x1ff, v5, v4
	v_lshrrev_b32_e32 v6, 8, v3
	v_bfe_u32 v7, v3, 20, 11
	v_lshrrev_b32_e32 v8, 8, v5
	v_cmp_ne_u32_e32 vcc_lo, 0, v2
	v_bfe_u32 v9, v5, 20, 11
	v_lshrrev_b32_e32 v3, 16, v3
	v_sub_nc_u32_e32 v10, 0x3f1, v7
	v_add_nc_u32_e32 v7, 0xfffffc10, v7
	v_cndmask_b32_e64 v2, 0, 1, vcc_lo
	v_cmp_ne_u32_e32 vcc_lo, 0, v4
	v_lshrrev_b32_e32 v5, 16, v5
	v_and_or_b32 v2, 0xffe, v6, v2
	v_cndmask_b32_e64 v4, 0, 1, vcc_lo
	v_sub_nc_u32_e32 v6, 0x3f1, v9
	v_add_nc_u32_e32 v9, 0xfffffc10, v9
	v_and_or_b32 v4, 0xffe, v8, v4
	v_med3_i32 v8, v10, 0, 13
	v_or_b32_e32 v10, 0x1000, v2
	v_med3_i32 v6, v6, 0, 13
	v_or_b32_e32 v11, 0x1000, v4
	v_lshrrev_b32_e32 v12, v8, v10
	v_lshrrev_b32_e32 v13, v6, v11
	v_lshlrev_b32_e32 v8, v8, v12
	v_lshlrev_b32_e32 v6, v6, v13
	v_cmp_ne_u32_e32 vcc_lo, v8, v10
	v_lshl_or_b32 v10, v7, 12, v2
	v_cndmask_b32_e64 v8, 0, 1, vcc_lo
	v_cmp_ne_u32_e32 vcc_lo, v6, v11
	v_lshl_or_b32 v11, v9, 12, v4
	v_or_b32_e32 v8, v12, v8
	v_cndmask_b32_e64 v6, 0, 1, vcc_lo
	v_cmp_gt_i32_e32 vcc_lo, 1, v7
	v_or_b32_e32 v6, v13, v6
	v_cndmask_b32_e32 v8, v10, v8, vcc_lo
	v_cmp_gt_i32_e32 vcc_lo, 1, v9
	v_and_b32_e32 v10, 7, v8
	v_cndmask_b32_e32 v6, v11, v6, vcc_lo
	v_cmp_ne_u32_e32 vcc_lo, 0, v2
	v_lshrrev_b32_e32 v8, 2, v8
	v_cmp_eq_u32_e64 s0, 3, v10
	v_and_b32_e32 v11, 7, v6
	v_cndmask_b32_e64 v2, 0, 1, vcc_lo
	v_cmp_ne_u32_e32 vcc_lo, 0, v4
	v_lshrrev_b32_e32 v6, 2, v6
	v_cmp_lt_i32_e64 s1, 5, v11
	v_cmp_eq_u32_e64 s2, 3, v11
	v_cndmask_b32_e64 v4, 0, 1, vcc_lo
	v_cmp_lt_i32_e32 vcc_lo, 5, v10
	v_lshl_or_b32 v2, v2, 9, 0x7c00
	v_lshl_or_b32 v4, v4, 9, 0x7c00
	s_or_b32 vcc_lo, s0, vcc_lo
	v_add_co_ci_u32_e32 v8, vcc_lo, 0, v8, vcc_lo
	s_or_b32 vcc_lo, s2, s1
	v_add_co_ci_u32_e32 v6, vcc_lo, 0, v6, vcc_lo
	v_cmp_gt_i32_e32 vcc_lo, 31, v7
	v_cndmask_b32_e32 v8, 0x7c00, v8, vcc_lo
	v_cmp_gt_i32_e32 vcc_lo, 31, v9
	v_cndmask_b32_e32 v6, 0x7c00, v6, vcc_lo
	v_cmp_eq_u32_e32 vcc_lo, 0x40f, v7
	v_cndmask_b32_e32 v2, v8, v2, vcc_lo
	v_cmp_eq_u32_e32 vcc_lo, 0x40f, v9
	v_and_or_b32 v2, 0x8000, v3, v2
	v_cndmask_b32_e32 v4, v6, v4, vcc_lo
	v_add_co_u32 v0, vcc_lo, v0, s6
	v_add_co_ci_u32_e32 v1, vcc_lo, s7, v1, vcc_lo
	v_and_or_b32 v3, 0x8000, v5, v4
	v_and_b32_e32 v2, 0xffff, v2
	v_lshl_or_b32 v2, v3, 16, v2
	global_store_dword v[0:1], v2, off
	global_load_dword v4, v[21:22], off offset:1220
	ds_read2_b32 v[2:3], v24 offset0:49 offset1:73
	s_waitcnt lgkmcnt(0)
	v_lshrrev_b32_e32 v5, 16, v2
	s_waitcnt vmcnt(0)
	v_mul_f16_sdwa v6, v5, v4 dst_sel:DWORD dst_unused:UNUSED_PAD src0_sel:DWORD src1_sel:WORD_1
	v_mul_f16_sdwa v7, v2, v4 dst_sel:DWORD dst_unused:UNUSED_PAD src0_sel:DWORD src1_sel:WORD_1
	v_fmac_f16_e32 v6, v2, v4
	v_fma_f16 v2, v4, v5, -v7
	v_cvt_f32_f16_e32 v4, v6
	v_cvt_f32_f16_e32 v2, v2
	v_cvt_f64_f32_e32 v[4:5], v4
	v_cvt_f64_f32_e32 v[6:7], v2
	v_mul_f64 v[4:5], v[4:5], s[4:5]
	v_mul_f64 v[6:7], v[6:7], s[4:5]
	v_and_or_b32 v2, 0x1ff, v5, v4
	v_and_or_b32 v6, 0x1ff, v7, v6
	v_lshrrev_b32_e32 v4, 8, v5
	v_bfe_u32 v8, v5, 20, 11
	v_lshrrev_b32_e32 v9, 8, v7
	v_cmp_ne_u32_e32 vcc_lo, 0, v2
	v_bfe_u32 v10, v7, 20, 11
	v_lshrrev_b32_e32 v5, 16, v5
	v_sub_nc_u32_e32 v11, 0x3f1, v8
	v_add_nc_u32_e32 v8, 0xfffffc10, v8
	v_cndmask_b32_e64 v2, 0, 1, vcc_lo
	v_cmp_ne_u32_e32 vcc_lo, 0, v6
	v_lshrrev_b32_e32 v7, 16, v7
	v_and_or_b32 v2, 0xffe, v4, v2
	v_cndmask_b32_e64 v6, 0, 1, vcc_lo
	v_sub_nc_u32_e32 v4, 0x3f1, v10
	v_add_nc_u32_e32 v10, 0xfffffc10, v10
	v_and_or_b32 v6, 0xffe, v9, v6
	v_med3_i32 v9, v11, 0, 13
	v_or_b32_e32 v11, 0x1000, v2
	v_med3_i32 v4, v4, 0, 13
	v_or_b32_e32 v12, 0x1000, v6
	v_lshrrev_b32_e32 v13, v9, v11
	v_lshrrev_b32_e32 v14, v4, v12
	v_lshlrev_b32_e32 v9, v9, v13
	v_lshlrev_b32_e32 v4, v4, v14
	v_cmp_ne_u32_e32 vcc_lo, v9, v11
	v_lshl_or_b32 v11, v8, 12, v2
	v_cndmask_b32_e64 v9, 0, 1, vcc_lo
	v_cmp_ne_u32_e32 vcc_lo, v4, v12
	v_lshl_or_b32 v12, v10, 12, v6
	v_or_b32_e32 v9, v13, v9
	v_cndmask_b32_e64 v4, 0, 1, vcc_lo
	v_cmp_gt_i32_e32 vcc_lo, 1, v8
	v_or_b32_e32 v4, v14, v4
	v_cndmask_b32_e32 v9, v11, v9, vcc_lo
	v_cmp_gt_i32_e32 vcc_lo, 1, v10
	v_and_b32_e32 v11, 7, v9
	v_cndmask_b32_e32 v4, v12, v4, vcc_lo
	v_cmp_ne_u32_e32 vcc_lo, 0, v2
	v_lshrrev_b32_e32 v9, 2, v9
	v_cmp_eq_u32_e64 s0, 3, v11
	v_and_b32_e32 v12, 7, v4
	v_cndmask_b32_e64 v2, 0, 1, vcc_lo
	v_cmp_ne_u32_e32 vcc_lo, 0, v6
	v_lshrrev_b32_e32 v4, 2, v4
	v_cmp_lt_i32_e64 s1, 5, v12
	v_cmp_eq_u32_e64 s2, 3, v12
	v_cndmask_b32_e64 v6, 0, 1, vcc_lo
	v_cmp_lt_i32_e32 vcc_lo, 5, v11
	v_lshl_or_b32 v2, v2, 9, 0x7c00
	v_lshl_or_b32 v6, v6, 9, 0x7c00
	s_or_b32 vcc_lo, s0, vcc_lo
	v_add_co_ci_u32_e32 v9, vcc_lo, 0, v9, vcc_lo
	s_or_b32 vcc_lo, s2, s1
	v_add_co_ci_u32_e32 v4, vcc_lo, 0, v4, vcc_lo
	v_cmp_gt_i32_e32 vcc_lo, 31, v8
	v_cndmask_b32_e32 v9, 0x7c00, v9, vcc_lo
	v_cmp_gt_i32_e32 vcc_lo, 31, v10
	v_cndmask_b32_e32 v4, 0x7c00, v4, vcc_lo
	v_cmp_eq_u32_e32 vcc_lo, 0x40f, v8
	v_cndmask_b32_e32 v2, v9, v2, vcc_lo
	v_cmp_eq_u32_e32 vcc_lo, 0x40f, v10
	v_and_or_b32 v2, 0x8000, v5, v2
	v_cndmask_b32_e32 v4, v4, v6, vcc_lo
	v_add_co_u32 v0, vcc_lo, v0, s6
	v_add_co_ci_u32_e32 v1, vcc_lo, s7, v1, vcc_lo
	v_and_or_b32 v4, 0x8000, v7, v4
	v_and_b32_e32 v2, 0xffff, v2
	v_lshl_or_b32 v2, v4, 16, v2
	v_lshrrev_b32_e32 v4, 16, v3
	global_store_dword v[0:1], v2, off
	global_load_dword v2, v[21:22], off offset:1316
	s_waitcnt vmcnt(0)
	v_mul_f16_sdwa v5, v4, v2 dst_sel:DWORD dst_unused:UNUSED_PAD src0_sel:DWORD src1_sel:WORD_1
	v_mul_f16_sdwa v6, v3, v2 dst_sel:DWORD dst_unused:UNUSED_PAD src0_sel:DWORD src1_sel:WORD_1
	v_fmac_f16_e32 v5, v3, v2
	v_fma_f16 v2, v2, v4, -v6
	v_cvt_f32_f16_e32 v3, v5
	v_cvt_f32_f16_e32 v4, v2
	v_cvt_f64_f32_e32 v[2:3], v3
	v_cvt_f64_f32_e32 v[4:5], v4
	v_mul_f64 v[2:3], v[2:3], s[4:5]
	v_mul_f64 v[4:5], v[4:5], s[4:5]
	v_and_or_b32 v2, 0x1ff, v3, v2
	v_and_or_b32 v4, 0x1ff, v5, v4
	v_lshrrev_b32_e32 v6, 8, v3
	v_bfe_u32 v7, v3, 20, 11
	v_lshrrev_b32_e32 v8, 8, v5
	v_cmp_ne_u32_e32 vcc_lo, 0, v2
	v_bfe_u32 v9, v5, 20, 11
	v_lshrrev_b32_e32 v3, 16, v3
	v_sub_nc_u32_e32 v10, 0x3f1, v7
	v_add_nc_u32_e32 v7, 0xfffffc10, v7
	v_cndmask_b32_e64 v2, 0, 1, vcc_lo
	v_cmp_ne_u32_e32 vcc_lo, 0, v4
	v_lshrrev_b32_e32 v5, 16, v5
	v_and_or_b32 v2, 0xffe, v6, v2
	v_cndmask_b32_e64 v4, 0, 1, vcc_lo
	v_sub_nc_u32_e32 v6, 0x3f1, v9
	v_add_nc_u32_e32 v9, 0xfffffc10, v9
	v_and_or_b32 v4, 0xffe, v8, v4
	v_med3_i32 v8, v10, 0, 13
	v_or_b32_e32 v10, 0x1000, v2
	v_med3_i32 v6, v6, 0, 13
	v_or_b32_e32 v11, 0x1000, v4
	v_lshrrev_b32_e32 v12, v8, v10
	v_lshrrev_b32_e32 v13, v6, v11
	v_lshlrev_b32_e32 v8, v8, v12
	v_lshlrev_b32_e32 v6, v6, v13
	v_cmp_ne_u32_e32 vcc_lo, v8, v10
	v_lshl_or_b32 v10, v7, 12, v2
	v_cndmask_b32_e64 v8, 0, 1, vcc_lo
	v_cmp_ne_u32_e32 vcc_lo, v6, v11
	v_lshl_or_b32 v11, v9, 12, v4
	v_or_b32_e32 v8, v12, v8
	v_cndmask_b32_e64 v6, 0, 1, vcc_lo
	v_cmp_gt_i32_e32 vcc_lo, 1, v7
	v_or_b32_e32 v6, v13, v6
	v_cndmask_b32_e32 v8, v10, v8, vcc_lo
	v_cmp_gt_i32_e32 vcc_lo, 1, v9
	v_and_b32_e32 v10, 7, v8
	v_cndmask_b32_e32 v6, v11, v6, vcc_lo
	v_cmp_ne_u32_e32 vcc_lo, 0, v2
	v_lshrrev_b32_e32 v8, 2, v8
	v_cmp_eq_u32_e64 s0, 3, v10
	v_and_b32_e32 v11, 7, v6
	v_cndmask_b32_e64 v2, 0, 1, vcc_lo
	v_cmp_ne_u32_e32 vcc_lo, 0, v4
	v_lshrrev_b32_e32 v6, 2, v6
	v_cmp_lt_i32_e64 s1, 5, v11
	v_cmp_eq_u32_e64 s2, 3, v11
	v_cndmask_b32_e64 v4, 0, 1, vcc_lo
	v_cmp_lt_i32_e32 vcc_lo, 5, v10
	v_lshl_or_b32 v2, v2, 9, 0x7c00
	v_lshl_or_b32 v4, v4, 9, 0x7c00
	s_or_b32 vcc_lo, s0, vcc_lo
	v_add_co_ci_u32_e32 v8, vcc_lo, 0, v8, vcc_lo
	s_or_b32 vcc_lo, s2, s1
	v_add_co_ci_u32_e32 v6, vcc_lo, 0, v6, vcc_lo
	v_cmp_gt_i32_e32 vcc_lo, 31, v7
	v_cndmask_b32_e32 v8, 0x7c00, v8, vcc_lo
	v_cmp_gt_i32_e32 vcc_lo, 31, v9
	v_cndmask_b32_e32 v6, 0x7c00, v6, vcc_lo
	v_cmp_eq_u32_e32 vcc_lo, 0x40f, v7
	v_cndmask_b32_e32 v2, v8, v2, vcc_lo
	v_cmp_eq_u32_e32 vcc_lo, 0x40f, v9
	v_and_or_b32 v2, 0x8000, v3, v2
	v_cndmask_b32_e32 v4, v6, v4, vcc_lo
	v_add_co_u32 v0, vcc_lo, v0, s6
	v_add_co_ci_u32_e32 v1, vcc_lo, s7, v1, vcc_lo
	v_and_or_b32 v3, 0x8000, v5, v4
	v_and_b32_e32 v2, 0xffff, v2
	v_lshl_or_b32 v2, v3, 16, v2
	global_store_dword v[0:1], v2, off
	global_load_dword v4, v[21:22], off offset:1412
	ds_read2_b32 v[2:3], v24 offset0:97 offset1:121
	s_waitcnt lgkmcnt(0)
	v_lshrrev_b32_e32 v5, 16, v2
	s_waitcnt vmcnt(0)
	v_mul_f16_sdwa v6, v5, v4 dst_sel:DWORD dst_unused:UNUSED_PAD src0_sel:DWORD src1_sel:WORD_1
	v_mul_f16_sdwa v7, v2, v4 dst_sel:DWORD dst_unused:UNUSED_PAD src0_sel:DWORD src1_sel:WORD_1
	v_fmac_f16_e32 v6, v2, v4
	v_fma_f16 v2, v4, v5, -v7
	v_cvt_f32_f16_e32 v4, v6
	v_cvt_f32_f16_e32 v2, v2
	v_cvt_f64_f32_e32 v[4:5], v4
	v_cvt_f64_f32_e32 v[6:7], v2
	v_mul_f64 v[4:5], v[4:5], s[4:5]
	v_mul_f64 v[6:7], v[6:7], s[4:5]
	v_and_or_b32 v2, 0x1ff, v5, v4
	v_and_or_b32 v6, 0x1ff, v7, v6
	v_lshrrev_b32_e32 v4, 8, v5
	v_bfe_u32 v8, v5, 20, 11
	v_lshrrev_b32_e32 v9, 8, v7
	v_cmp_ne_u32_e32 vcc_lo, 0, v2
	v_bfe_u32 v10, v7, 20, 11
	v_lshrrev_b32_e32 v5, 16, v5
	v_sub_nc_u32_e32 v11, 0x3f1, v8
	v_add_nc_u32_e32 v8, 0xfffffc10, v8
	v_cndmask_b32_e64 v2, 0, 1, vcc_lo
	v_cmp_ne_u32_e32 vcc_lo, 0, v6
	v_lshrrev_b32_e32 v7, 16, v7
	v_and_or_b32 v2, 0xffe, v4, v2
	v_cndmask_b32_e64 v6, 0, 1, vcc_lo
	v_sub_nc_u32_e32 v4, 0x3f1, v10
	v_add_nc_u32_e32 v10, 0xfffffc10, v10
	v_and_or_b32 v6, 0xffe, v9, v6
	v_med3_i32 v9, v11, 0, 13
	v_or_b32_e32 v11, 0x1000, v2
	v_med3_i32 v4, v4, 0, 13
	v_or_b32_e32 v12, 0x1000, v6
	v_lshrrev_b32_e32 v13, v9, v11
	v_lshrrev_b32_e32 v14, v4, v12
	v_lshlrev_b32_e32 v9, v9, v13
	v_lshlrev_b32_e32 v4, v4, v14
	v_cmp_ne_u32_e32 vcc_lo, v9, v11
	v_lshl_or_b32 v11, v8, 12, v2
	v_cndmask_b32_e64 v9, 0, 1, vcc_lo
	v_cmp_ne_u32_e32 vcc_lo, v4, v12
	v_lshl_or_b32 v12, v10, 12, v6
	v_or_b32_e32 v9, v13, v9
	v_cndmask_b32_e64 v4, 0, 1, vcc_lo
	v_cmp_gt_i32_e32 vcc_lo, 1, v8
	v_or_b32_e32 v4, v14, v4
	v_cndmask_b32_e32 v9, v11, v9, vcc_lo
	v_cmp_gt_i32_e32 vcc_lo, 1, v10
	v_and_b32_e32 v11, 7, v9
	v_cndmask_b32_e32 v4, v12, v4, vcc_lo
	v_cmp_ne_u32_e32 vcc_lo, 0, v2
	v_lshrrev_b32_e32 v9, 2, v9
	v_cmp_eq_u32_e64 s0, 3, v11
	v_and_b32_e32 v12, 7, v4
	v_cndmask_b32_e64 v2, 0, 1, vcc_lo
	v_cmp_ne_u32_e32 vcc_lo, 0, v6
	v_lshrrev_b32_e32 v4, 2, v4
	v_cmp_lt_i32_e64 s1, 5, v12
	v_cmp_eq_u32_e64 s2, 3, v12
	v_cndmask_b32_e64 v6, 0, 1, vcc_lo
	v_cmp_lt_i32_e32 vcc_lo, 5, v11
	v_lshl_or_b32 v2, v2, 9, 0x7c00
	v_lshl_or_b32 v6, v6, 9, 0x7c00
	s_or_b32 vcc_lo, s0, vcc_lo
	v_add_co_ci_u32_e32 v9, vcc_lo, 0, v9, vcc_lo
	s_or_b32 vcc_lo, s2, s1
	v_add_co_ci_u32_e32 v4, vcc_lo, 0, v4, vcc_lo
	v_cmp_gt_i32_e32 vcc_lo, 31, v8
	v_cndmask_b32_e32 v9, 0x7c00, v9, vcc_lo
	v_cmp_gt_i32_e32 vcc_lo, 31, v10
	v_cndmask_b32_e32 v4, 0x7c00, v4, vcc_lo
	v_cmp_eq_u32_e32 vcc_lo, 0x40f, v8
	v_cndmask_b32_e32 v2, v9, v2, vcc_lo
	v_cmp_eq_u32_e32 vcc_lo, 0x40f, v10
	v_and_or_b32 v2, 0x8000, v5, v2
	v_cndmask_b32_e32 v4, v4, v6, vcc_lo
	v_add_co_u32 v0, vcc_lo, v0, s6
	v_add_co_ci_u32_e32 v1, vcc_lo, s7, v1, vcc_lo
	v_and_or_b32 v4, 0x8000, v7, v4
	v_and_b32_e32 v2, 0xffff, v2
	v_lshl_or_b32 v2, v4, 16, v2
	v_lshrrev_b32_e32 v4, 16, v3
	global_store_dword v[0:1], v2, off
	global_load_dword v2, v[21:22], off offset:1508
	s_waitcnt vmcnt(0)
	v_mul_f16_sdwa v5, v4, v2 dst_sel:DWORD dst_unused:UNUSED_PAD src0_sel:DWORD src1_sel:WORD_1
	v_mul_f16_sdwa v6, v3, v2 dst_sel:DWORD dst_unused:UNUSED_PAD src0_sel:DWORD src1_sel:WORD_1
	v_fmac_f16_e32 v5, v3, v2
	v_fma_f16 v2, v2, v4, -v6
	v_cvt_f32_f16_e32 v3, v5
	v_cvt_f32_f16_e32 v4, v2
	v_cvt_f64_f32_e32 v[2:3], v3
	v_cvt_f64_f32_e32 v[4:5], v4
	v_mul_f64 v[2:3], v[2:3], s[4:5]
	v_mul_f64 v[4:5], v[4:5], s[4:5]
	v_and_or_b32 v2, 0x1ff, v3, v2
	v_and_or_b32 v4, 0x1ff, v5, v4
	v_lshrrev_b32_e32 v6, 8, v3
	v_bfe_u32 v7, v3, 20, 11
	v_lshrrev_b32_e32 v8, 8, v5
	v_cmp_ne_u32_e32 vcc_lo, 0, v2
	v_bfe_u32 v9, v5, 20, 11
	v_lshrrev_b32_e32 v3, 16, v3
	v_sub_nc_u32_e32 v10, 0x3f1, v7
	v_add_nc_u32_e32 v7, 0xfffffc10, v7
	v_cndmask_b32_e64 v2, 0, 1, vcc_lo
	v_cmp_ne_u32_e32 vcc_lo, 0, v4
	v_lshrrev_b32_e32 v5, 16, v5
	v_and_or_b32 v2, 0xffe, v6, v2
	v_cndmask_b32_e64 v4, 0, 1, vcc_lo
	v_sub_nc_u32_e32 v6, 0x3f1, v9
	v_add_nc_u32_e32 v9, 0xfffffc10, v9
	v_and_or_b32 v4, 0xffe, v8, v4
	v_med3_i32 v8, v10, 0, 13
	v_or_b32_e32 v10, 0x1000, v2
	v_med3_i32 v6, v6, 0, 13
	v_or_b32_e32 v11, 0x1000, v4
	v_lshrrev_b32_e32 v12, v8, v10
	v_lshrrev_b32_e32 v13, v6, v11
	v_lshlrev_b32_e32 v8, v8, v12
	v_lshlrev_b32_e32 v6, v6, v13
	v_cmp_ne_u32_e32 vcc_lo, v8, v10
	v_lshl_or_b32 v10, v7, 12, v2
	v_cndmask_b32_e64 v8, 0, 1, vcc_lo
	v_cmp_ne_u32_e32 vcc_lo, v6, v11
	v_lshl_or_b32 v11, v9, 12, v4
	v_or_b32_e32 v8, v12, v8
	v_cndmask_b32_e64 v6, 0, 1, vcc_lo
	v_cmp_gt_i32_e32 vcc_lo, 1, v7
	v_or_b32_e32 v6, v13, v6
	v_cndmask_b32_e32 v8, v10, v8, vcc_lo
	v_cmp_gt_i32_e32 vcc_lo, 1, v9
	v_and_b32_e32 v10, 7, v8
	v_cndmask_b32_e32 v6, v11, v6, vcc_lo
	v_cmp_ne_u32_e32 vcc_lo, 0, v2
	v_lshrrev_b32_e32 v8, 2, v8
	v_cmp_eq_u32_e64 s0, 3, v10
	v_and_b32_e32 v11, 7, v6
	v_cndmask_b32_e64 v2, 0, 1, vcc_lo
	v_cmp_ne_u32_e32 vcc_lo, 0, v4
	v_lshrrev_b32_e32 v6, 2, v6
	v_cmp_lt_i32_e64 s1, 5, v11
	v_cmp_eq_u32_e64 s2, 3, v11
	v_cndmask_b32_e64 v4, 0, 1, vcc_lo
	v_cmp_lt_i32_e32 vcc_lo, 5, v10
	v_lshl_or_b32 v2, v2, 9, 0x7c00
	v_lshl_or_b32 v4, v4, 9, 0x7c00
	s_or_b32 vcc_lo, s0, vcc_lo
	v_add_co_ci_u32_e32 v8, vcc_lo, 0, v8, vcc_lo
	s_or_b32 vcc_lo, s2, s1
	v_add_co_ci_u32_e32 v6, vcc_lo, 0, v6, vcc_lo
	v_cmp_gt_i32_e32 vcc_lo, 31, v7
	v_cndmask_b32_e32 v8, 0x7c00, v8, vcc_lo
	v_cmp_gt_i32_e32 vcc_lo, 31, v9
	v_cndmask_b32_e32 v6, 0x7c00, v6, vcc_lo
	v_cmp_eq_u32_e32 vcc_lo, 0x40f, v7
	v_cndmask_b32_e32 v2, v8, v2, vcc_lo
	v_cmp_eq_u32_e32 vcc_lo, 0x40f, v9
	v_and_or_b32 v2, 0x8000, v3, v2
	v_cndmask_b32_e32 v4, v6, v4, vcc_lo
	v_add_co_u32 v0, vcc_lo, v0, s6
	v_add_co_ci_u32_e32 v1, vcc_lo, s7, v1, vcc_lo
	v_and_or_b32 v3, 0x8000, v5, v4
	v_and_b32_e32 v2, 0xffff, v2
	v_lshl_or_b32 v2, v3, 16, v2
	ds_read_b32 v3, v70 offset:1604
	global_store_dword v[0:1], v2, off
	global_load_dword v2, v[21:22], off offset:1604
	s_waitcnt lgkmcnt(0)
	v_lshrrev_b32_e32 v4, 16, v3
	s_waitcnt vmcnt(0)
	v_mul_f16_sdwa v5, v4, v2 dst_sel:DWORD dst_unused:UNUSED_PAD src0_sel:DWORD src1_sel:WORD_1
	v_mul_f16_sdwa v6, v3, v2 dst_sel:DWORD dst_unused:UNUSED_PAD src0_sel:DWORD src1_sel:WORD_1
	v_fmac_f16_e32 v5, v3, v2
	v_fma_f16 v2, v2, v4, -v6
	v_cvt_f32_f16_e32 v3, v5
	v_cvt_f32_f16_e32 v4, v2
	v_cvt_f64_f32_e32 v[2:3], v3
	v_cvt_f64_f32_e32 v[4:5], v4
	v_mul_f64 v[2:3], v[2:3], s[4:5]
	v_mul_f64 v[4:5], v[4:5], s[4:5]
	v_and_or_b32 v2, 0x1ff, v3, v2
	v_and_or_b32 v4, 0x1ff, v5, v4
	v_lshrrev_b32_e32 v6, 8, v3
	v_bfe_u32 v7, v3, 20, 11
	v_lshrrev_b32_e32 v8, 8, v5
	v_cmp_ne_u32_e32 vcc_lo, 0, v2
	v_bfe_u32 v9, v5, 20, 11
	v_lshrrev_b32_e32 v3, 16, v3
	v_sub_nc_u32_e32 v10, 0x3f1, v7
	v_add_nc_u32_e32 v7, 0xfffffc10, v7
	v_cndmask_b32_e64 v2, 0, 1, vcc_lo
	v_cmp_ne_u32_e32 vcc_lo, 0, v4
	v_lshrrev_b32_e32 v5, 16, v5
	v_and_or_b32 v2, 0xffe, v6, v2
	v_cndmask_b32_e64 v4, 0, 1, vcc_lo
	v_sub_nc_u32_e32 v6, 0x3f1, v9
	v_add_nc_u32_e32 v9, 0xfffffc10, v9
	v_and_or_b32 v4, 0xffe, v8, v4
	v_med3_i32 v8, v10, 0, 13
	v_or_b32_e32 v10, 0x1000, v2
	v_med3_i32 v6, v6, 0, 13
	v_or_b32_e32 v11, 0x1000, v4
	v_lshrrev_b32_e32 v12, v8, v10
	v_lshrrev_b32_e32 v13, v6, v11
	v_lshlrev_b32_e32 v8, v8, v12
	v_lshlrev_b32_e32 v6, v6, v13
	v_cmp_ne_u32_e32 vcc_lo, v8, v10
	v_lshl_or_b32 v10, v7, 12, v2
	v_cndmask_b32_e64 v8, 0, 1, vcc_lo
	v_cmp_ne_u32_e32 vcc_lo, v6, v11
	v_lshl_or_b32 v11, v9, 12, v4
	v_or_b32_e32 v8, v12, v8
	v_cndmask_b32_e64 v6, 0, 1, vcc_lo
	v_cmp_gt_i32_e32 vcc_lo, 1, v7
	v_or_b32_e32 v6, v13, v6
	v_cndmask_b32_e32 v8, v10, v8, vcc_lo
	v_cmp_gt_i32_e32 vcc_lo, 1, v9
	v_and_b32_e32 v10, 7, v8
	v_cndmask_b32_e32 v6, v11, v6, vcc_lo
	v_cmp_ne_u32_e32 vcc_lo, 0, v2
	v_lshrrev_b32_e32 v8, 2, v8
	v_cmp_eq_u32_e64 s0, 3, v10
	v_and_b32_e32 v11, 7, v6
	v_cndmask_b32_e64 v2, 0, 1, vcc_lo
	v_cmp_ne_u32_e32 vcc_lo, 0, v4
	v_lshrrev_b32_e32 v6, 2, v6
	v_cmp_lt_i32_e64 s1, 5, v11
	v_cmp_eq_u32_e64 s2, 3, v11
	v_cndmask_b32_e64 v4, 0, 1, vcc_lo
	v_cmp_lt_i32_e32 vcc_lo, 5, v10
	v_lshl_or_b32 v2, v2, 9, 0x7c00
	v_lshl_or_b32 v4, v4, 9, 0x7c00
	s_or_b32 vcc_lo, s0, vcc_lo
	v_add_co_ci_u32_e32 v8, vcc_lo, 0, v8, vcc_lo
	s_or_b32 vcc_lo, s2, s1
	v_add_co_ci_u32_e32 v6, vcc_lo, 0, v6, vcc_lo
	v_cmp_gt_i32_e32 vcc_lo, 31, v7
	v_cndmask_b32_e32 v8, 0x7c00, v8, vcc_lo
	v_cmp_gt_i32_e32 vcc_lo, 31, v9
	v_cndmask_b32_e32 v6, 0x7c00, v6, vcc_lo
	v_cmp_eq_u32_e32 vcc_lo, 0x40f, v7
	v_cndmask_b32_e32 v2, v8, v2, vcc_lo
	v_cmp_eq_u32_e32 vcc_lo, 0x40f, v9
	v_and_or_b32 v2, 0x8000, v3, v2
	v_cndmask_b32_e32 v4, v6, v4, vcc_lo
	v_add_co_u32 v0, vcc_lo, v0, s6
	v_add_co_ci_u32_e32 v1, vcc_lo, s7, v1, vcc_lo
	v_and_or_b32 v3, 0x8000, v5, v4
	v_and_b32_e32 v2, 0xffff, v2
	v_lshl_or_b32 v2, v3, 16, v2
	global_store_dword v[0:1], v2, off
.LBB0_15:
	s_endpgm
	.section	.rodata,"a",@progbits
	.p2align	6, 0x0
	.amdhsa_kernel bluestein_single_fwd_len408_dim1_half_op_CI_CI
		.amdhsa_group_segment_fixed_size 4896
		.amdhsa_private_segment_fixed_size 48
		.amdhsa_kernarg_size 104
		.amdhsa_user_sgpr_count 6
		.amdhsa_user_sgpr_private_segment_buffer 1
		.amdhsa_user_sgpr_dispatch_ptr 0
		.amdhsa_user_sgpr_queue_ptr 0
		.amdhsa_user_sgpr_kernarg_segment_ptr 1
		.amdhsa_user_sgpr_dispatch_id 0
		.amdhsa_user_sgpr_flat_scratch_init 0
		.amdhsa_user_sgpr_private_segment_size 0
		.amdhsa_wavefront_size32 1
		.amdhsa_uses_dynamic_stack 0
		.amdhsa_system_sgpr_private_segment_wavefront_offset 1
		.amdhsa_system_sgpr_workgroup_id_x 1
		.amdhsa_system_sgpr_workgroup_id_y 0
		.amdhsa_system_sgpr_workgroup_id_z 0
		.amdhsa_system_sgpr_workgroup_info 0
		.amdhsa_system_vgpr_workitem_id 0
		.amdhsa_next_free_vgpr 256
		.amdhsa_next_free_sgpr 24
		.amdhsa_reserve_vcc 1
		.amdhsa_reserve_flat_scratch 0
		.amdhsa_float_round_mode_32 0
		.amdhsa_float_round_mode_16_64 0
		.amdhsa_float_denorm_mode_32 3
		.amdhsa_float_denorm_mode_16_64 3
		.amdhsa_dx10_clamp 1
		.amdhsa_ieee_mode 1
		.amdhsa_fp16_overflow 0
		.amdhsa_workgroup_processor_mode 1
		.amdhsa_memory_ordered 1
		.amdhsa_forward_progress 0
		.amdhsa_shared_vgpr_count 0
		.amdhsa_exception_fp_ieee_invalid_op 0
		.amdhsa_exception_fp_denorm_src 0
		.amdhsa_exception_fp_ieee_div_zero 0
		.amdhsa_exception_fp_ieee_overflow 0
		.amdhsa_exception_fp_ieee_underflow 0
		.amdhsa_exception_fp_ieee_inexact 0
		.amdhsa_exception_int_div_zero 0
	.end_amdhsa_kernel
	.text
.Lfunc_end0:
	.size	bluestein_single_fwd_len408_dim1_half_op_CI_CI, .Lfunc_end0-bluestein_single_fwd_len408_dim1_half_op_CI_CI
                                        ; -- End function
	.section	.AMDGPU.csdata,"",@progbits
; Kernel info:
; codeLenInByte = 55552
; NumSgprs: 26
; NumVgprs: 256
; ScratchSize: 48
; MemoryBound: 0
; FloatMode: 240
; IeeeMode: 1
; LDSByteSize: 4896 bytes/workgroup (compile time only)
; SGPRBlocks: 3
; VGPRBlocks: 31
; NumSGPRsForWavesPerEU: 26
; NumVGPRsForWavesPerEU: 256
; Occupancy: 4
; WaveLimiterHint : 1
; COMPUTE_PGM_RSRC2:SCRATCH_EN: 1
; COMPUTE_PGM_RSRC2:USER_SGPR: 6
; COMPUTE_PGM_RSRC2:TRAP_HANDLER: 0
; COMPUTE_PGM_RSRC2:TGID_X_EN: 1
; COMPUTE_PGM_RSRC2:TGID_Y_EN: 0
; COMPUTE_PGM_RSRC2:TGID_Z_EN: 0
; COMPUTE_PGM_RSRC2:TIDIG_COMP_CNT: 0
	.text
	.p2alignl 6, 3214868480
	.fill 48, 4, 3214868480
	.type	__hip_cuid_7fdceb7bd952f310,@object ; @__hip_cuid_7fdceb7bd952f310
	.section	.bss,"aw",@nobits
	.globl	__hip_cuid_7fdceb7bd952f310
__hip_cuid_7fdceb7bd952f310:
	.byte	0                               ; 0x0
	.size	__hip_cuid_7fdceb7bd952f310, 1

	.ident	"AMD clang version 19.0.0git (https://github.com/RadeonOpenCompute/llvm-project roc-6.4.0 25133 c7fe45cf4b819c5991fe208aaa96edf142730f1d)"
	.section	".note.GNU-stack","",@progbits
	.addrsig
	.addrsig_sym __hip_cuid_7fdceb7bd952f310
	.amdgpu_metadata
---
amdhsa.kernels:
  - .args:
      - .actual_access:  read_only
        .address_space:  global
        .offset:         0
        .size:           8
        .value_kind:     global_buffer
      - .actual_access:  read_only
        .address_space:  global
        .offset:         8
        .size:           8
        .value_kind:     global_buffer
      - .actual_access:  read_only
        .address_space:  global
        .offset:         16
        .size:           8
        .value_kind:     global_buffer
      - .actual_access:  read_only
        .address_space:  global
        .offset:         24
        .size:           8
        .value_kind:     global_buffer
      - .actual_access:  read_only
        .address_space:  global
        .offset:         32
        .size:           8
        .value_kind:     global_buffer
      - .offset:         40
        .size:           8
        .value_kind:     by_value
      - .address_space:  global
        .offset:         48
        .size:           8
        .value_kind:     global_buffer
      - .address_space:  global
        .offset:         56
        .size:           8
        .value_kind:     global_buffer
      - .address_space:  global
        .offset:         64
        .size:           8
        .value_kind:     global_buffer
      - .address_space:  global
        .offset:         72
        .size:           8
        .value_kind:     global_buffer
      - .offset:         80
        .size:           4
        .value_kind:     by_value
      - .address_space:  global
        .offset:         88
        .size:           8
        .value_kind:     global_buffer
      - .address_space:  global
        .offset:         96
        .size:           8
        .value_kind:     global_buffer
    .group_segment_fixed_size: 4896
    .kernarg_segment_align: 8
    .kernarg_segment_size: 104
    .language:       OpenCL C
    .language_version:
      - 2
      - 0
    .max_flat_workgroup_size: 51
    .name:           bluestein_single_fwd_len408_dim1_half_op_CI_CI
    .private_segment_fixed_size: 48
    .sgpr_count:     26
    .sgpr_spill_count: 0
    .symbol:         bluestein_single_fwd_len408_dim1_half_op_CI_CI.kd
    .uniform_work_group_size: 1
    .uses_dynamic_stack: false
    .vgpr_count:     256
    .vgpr_spill_count: 11
    .wavefront_size: 32
    .workgroup_processor_mode: 1
amdhsa.target:   amdgcn-amd-amdhsa--gfx1030
amdhsa.version:
  - 1
  - 2
...

	.end_amdgpu_metadata
